;; amdgpu-corpus repo=ROCm/rocFFT kind=compiled arch=gfx1030 opt=O3
	.text
	.amdgcn_target "amdgcn-amd-amdhsa--gfx1030"
	.amdhsa_code_object_version 6
	.protected	bluestein_single_fwd_len1700_dim1_sp_op_CI_CI ; -- Begin function bluestein_single_fwd_len1700_dim1_sp_op_CI_CI
	.globl	bluestein_single_fwd_len1700_dim1_sp_op_CI_CI
	.p2align	8
	.type	bluestein_single_fwd_len1700_dim1_sp_op_CI_CI,@function
bluestein_single_fwd_len1700_dim1_sp_op_CI_CI: ; @bluestein_single_fwd_len1700_dim1_sp_op_CI_CI
; %bb.0:
	s_load_dwordx4 s[0:3], s[4:5], 0x28
	v_mul_u32_u24_e32 v1, 0x182, v0
	v_mov_b32_e32 v237, 0
	v_lshrrev_b32_e32 v1, 16, v1
	v_add_nc_u32_e32 v236, s6, v1
	s_waitcnt lgkmcnt(0)
	v_cmp_gt_u64_e32 vcc_lo, s[0:1], v[236:237]
	s_and_saveexec_b32 s0, vcc_lo
	s_cbranch_execz .LBB0_15
; %bb.1:
	s_clause 0x1
	s_load_dwordx2 s[12:13], s[4:5], 0x0
	s_load_dwordx2 s[14:15], s[4:5], 0x38
	v_mul_lo_u16 v1, 0xaa, v1
	v_sub_nc_u16 v0, v0, v1
	v_and_b32_e32 v86, 0xffff, v0
	v_cmp_gt_u16_e32 vcc_lo, 0x64, v0
	v_lshlrev_b32_e32 v85, 3, v86
	s_and_saveexec_b32 s1, vcc_lo
	s_cbranch_execz .LBB0_3
; %bb.2:
	s_load_dwordx2 s[6:7], s[4:5], 0x18
	s_waitcnt lgkmcnt(0)
	v_add_co_u32 v23, s0, s12, v85
	v_add_co_ci_u32_e64 v24, null, s13, 0, s0
	v_add_nc_u32_e32 v71, 0x400, v85
	v_add_co_u32 v6, s0, 0x800, v23
	v_add_co_ci_u32_e64 v7, s0, 0, v24, s0
	v_add_co_u32 v10, s0, 0x1000, v23
	v_add_co_ci_u32_e64 v11, s0, 0, v24, s0
	;; [unrolled: 2-line block ×3, first 2 shown]
	v_add_co_u32 v16, s0, 0x2000, v23
	s_load_dwordx4 s[8:11], s[6:7], 0x0
	v_add_co_ci_u32_e64 v17, s0, 0, v24, s0
	s_clause 0x2
	global_load_dwordx2 v[0:1], v85, s[12:13]
	global_load_dwordx2 v[2:3], v85, s[12:13] offset:800
	global_load_dwordx2 v[4:5], v85, s[12:13] offset:1600
	v_add_nc_u32_e32 v72, 0x800, v85
	v_add_nc_u32_e32 v73, 0x1000, v85
	;; [unrolled: 1-line block ×6, first 2 shown]
	s_waitcnt lgkmcnt(0)
	v_mad_u64_u32 v[8:9], null, s10, v236, 0
	v_mad_u64_u32 v[12:13], null, s8, v86, 0
	s_mul_i32 s6, s9, 0x320
	s_mul_hi_u32 s7, s8, 0x320
	s_add_i32 s7, s7, s6
	v_mad_u64_u32 v[18:19], null, s11, v236, v[9:10]
	v_mad_u64_u32 v[21:22], null, s9, v86, v[13:14]
	v_add_co_u32 v19, s0, 0x2800, v23
	v_add_co_ci_u32_e64 v20, s0, 0, v24, s0
	v_mov_b32_e32 v9, v18
	v_add_co_u32 v22, s0, 0x3000, v23
	v_mov_b32_e32 v13, v21
	v_add_co_ci_u32_e64 v23, s0, 0, v24, s0
	v_lshlrev_b64 v[8:9], 3, v[8:9]
	s_clause 0x2
	global_load_dwordx2 v[24:25], v[6:7], off offset:352
	global_load_dwordx2 v[26:27], v[6:7], off offset:1152
	;; [unrolled: 1-line block ×3, first 2 shown]
	v_lshlrev_b64 v[12:13], 3, v[12:13]
	s_clause 0x6
	global_load_dwordx2 v[28:29], v[10:11], off offset:704
	global_load_dwordx2 v[10:11], v[10:11], off offset:1504
	global_load_dwordx2 v[30:31], v[14:15], off offset:256
	global_load_dwordx2 v[32:33], v[14:15], off offset:1056
	global_load_dwordx2 v[14:15], v[14:15], off offset:1856
	global_load_dwordx2 v[36:37], v[16:17], off offset:608
	global_load_dwordx2 v[16:17], v[16:17], off offset:1408
	v_add_co_u32 v8, s0, s2, v8
	v_add_co_ci_u32_e64 v9, s0, s3, v9, s0
	s_mul_i32 s2, s8, 0x320
	v_add_co_u32 v8, s0, v8, v12
	v_add_co_ci_u32_e64 v9, s0, v9, v13, s0
	s_clause 0x1
	global_load_dwordx2 v[40:41], v[19:20], off offset:160
	global_load_dwordx2 v[42:43], v[19:20], off offset:960
	v_add_co_u32 v12, s0, v8, s2
	v_add_co_ci_u32_e64 v13, s0, s7, v9, s0
	v_add_co_u32 v34, s0, v12, s2
	v_add_co_ci_u32_e64 v35, s0, s7, v13, s0
	;; [unrolled: 2-line block ×4, first 2 shown]
	s_clause 0x3
	global_load_dwordx2 v[8:9], v[8:9], off
	global_load_dwordx2 v[12:13], v[12:13], off
	;; [unrolled: 1-line block ×4, first 2 shown]
	v_add_co_u32 v46, s0, v44, s2
	v_add_co_ci_u32_e64 v47, s0, s7, v45, s0
	global_load_dwordx2 v[44:45], v[44:45], off
	v_add_co_u32 v48, s0, v46, s2
	v_add_co_ci_u32_e64 v49, s0, s7, v47, s0
	global_load_dwordx2 v[46:47], v[46:47], off
	;; [unrolled: 3-line block ×11, first 2 shown]
	v_add_co_u32 v69, s0, v67, s2
	v_add_co_ci_u32_e64 v70, s0, s7, v68, s0
	global_load_dwordx2 v[18:19], v[19:20], off offset:1760
	global_load_dwordx2 v[20:21], v[67:68], off
	global_load_dwordx2 v[22:23], v[22:23], off offset:512
	global_load_dwordx2 v[67:68], v[69:70], off
	s_waitcnt vmcnt(18)
	v_mul_f32_e32 v69, v9, v1
	v_mul_f32_e32 v70, v8, v1
	s_waitcnt vmcnt(17)
	v_mul_f32_e32 v1, v13, v3
	v_fmac_f32_e32 v69, v8, v0
	v_fma_f32 v70, v9, v0, -v70
	v_mul_f32_e32 v0, v12, v3
	s_waitcnt vmcnt(16)
	v_mul_f32_e32 v3, v35, v5
	v_mul_f32_e32 v5, v34, v5
	s_waitcnt vmcnt(15)
	v_mul_f32_e32 v8, v39, v25
	v_mul_f32_e32 v9, v38, v25
	v_fmac_f32_e32 v1, v12, v2
	v_fma_f32 v2, v13, v2, -v0
	v_fmac_f32_e32 v3, v34, v4
	v_fma_f32 v4, v35, v4, -v5
	;; [unrolled: 2-line block ×3, first 2 shown]
	s_waitcnt vmcnt(14)
	v_mul_f32_e32 v5, v44, v27
	v_mul_f32_e32 v0, v45, v27
	ds_write2_b64 v85, v[69:70], v[1:2] offset1:100
	s_waitcnt vmcnt(13)
	v_mul_f32_e32 v12, v46, v7
	v_mul_f32_e32 v2, v47, v7
	ds_write2_b64 v71, v[3:4], v[8:9] offset0:72 offset1:172
	v_fma_f32 v1, v45, v26, -v5
	s_waitcnt vmcnt(12)
	v_mul_f32_e32 v4, v49, v29
	v_mul_f32_e32 v5, v48, v29
	s_waitcnt vmcnt(11)
	v_mul_f32_e32 v7, v51, v11
	v_mul_f32_e32 v8, v50, v11
	v_fmac_f32_e32 v0, v44, v26
	v_fma_f32 v3, v47, v6, -v12
	v_fmac_f32_e32 v2, v46, v6
	v_fmac_f32_e32 v4, v48, v28
	v_fma_f32 v5, v49, v28, -v5
	v_fmac_f32_e32 v7, v50, v10
	v_fma_f32 v8, v51, v10, -v8
	s_waitcnt vmcnt(10)
	v_mul_f32_e32 v9, v52, v31
	ds_write2_b64 v72, v[0:1], v[2:3] offset0:144 offset1:244
	s_waitcnt vmcnt(8)
	v_mul_f32_e32 v2, v57, v15
	v_mul_f32_e32 v3, v56, v15
	ds_write2_b64 v73, v[4:5], v[7:8] offset0:88 offset1:188
	v_fma_f32 v7, v53, v30, -v9
	v_mul_f32_e32 v6, v53, v31
	v_mul_f32_e32 v0, v55, v33
	;; [unrolled: 1-line block ×3, first 2 shown]
	s_waitcnt vmcnt(7)
	v_mul_f32_e32 v4, v59, v37
	v_mul_f32_e32 v5, v58, v37
	v_fmac_f32_e32 v2, v56, v14
	s_waitcnt vmcnt(6)
	v_mul_f32_e32 v8, v61, v17
	v_mul_f32_e32 v9, v60, v17
	v_fma_f32 v3, v57, v14, -v3
	v_fmac_f32_e32 v6, v52, v30
	v_fmac_f32_e32 v0, v54, v32
	s_waitcnt vmcnt(5)
	v_mul_f32_e32 v10, v63, v41
	v_mul_f32_e32 v11, v62, v41
	v_fmac_f32_e32 v8, v60, v16
	v_fma_f32 v9, v61, v16, -v9
	v_fma_f32 v1, v55, v32, -v1
	s_waitcnt vmcnt(4)
	v_mul_f32_e32 v12, v66, v43
	v_mul_f32_e32 v13, v65, v43
	v_fmac_f32_e32 v4, v58, v36
	s_waitcnt vmcnt(2)
	v_mul_f32_e32 v14, v21, v19
	v_mul_f32_e32 v15, v20, v19
	s_waitcnt vmcnt(0)
	v_mul_f32_e32 v16, v68, v23
	v_mul_f32_e32 v17, v67, v23
	v_fma_f32 v5, v59, v36, -v5
	v_fmac_f32_e32 v10, v62, v40
	v_fma_f32 v11, v63, v40, -v11
	v_fmac_f32_e32 v12, v65, v42
	;; [unrolled: 2-line block ×4, first 2 shown]
	v_fma_f32 v17, v68, v22, -v17
	ds_write2_b64 v74, v[6:7], v[0:1] offset0:32 offset1:132
	ds_write2_b64 v75, v[2:3], v[4:5] offset0:104 offset1:204
	;; [unrolled: 1-line block ×4, first 2 shown]
	ds_write_b64 v85, v[16:17] offset:12800
.LBB0_3:
	s_or_b32 exec_lo, exec_lo, s1
	s_load_dwordx2 s[0:1], s[4:5], 0x20
	v_mov_b32_e32 v12, 0
	v_mov_b32_e32 v13, 0
	s_waitcnt lgkmcnt(0)
	s_barrier
	buffer_gl0_inv
                                        ; implicit-def: $vgpr30
                                        ; implicit-def: $vgpr24
                                        ; implicit-def: $vgpr20
                                        ; implicit-def: $vgpr16
                                        ; implicit-def: $vgpr44
                                        ; implicit-def: $vgpr42
                                        ; implicit-def: $vgpr34
                                        ; implicit-def: $vgpr38
	s_and_saveexec_b32 s2, vcc_lo
	s_cbranch_execz .LBB0_5
; %bb.4:
	v_add_nc_u32_e32 v0, 0x400, v85
	v_add_nc_u32_e32 v1, 0x800, v85
	v_add_nc_u32_e32 v2, 0x1000, v85
	ds_read2_b64 v[12:15], v85 offset1:100
	v_add_nc_u32_e32 v3, 0x2400, v85
	ds_read2_b64 v[36:39], v0 offset0:72 offset1:172
	ds_read2_b64 v[32:35], v1 offset0:144 offset1:244
	v_add_nc_u32_e32 v0, 0x1800, v85
	v_add_nc_u32_e32 v1, 0x1c00, v85
	;; [unrolled: 1-line block ×3, first 2 shown]
	ds_read2_b64 v[40:43], v2 offset0:88 offset1:188
	ds_read2_b64 v[28:31], v0 offset0:32 offset1:132
	;; [unrolled: 1-line block ×5, first 2 shown]
	ds_read_b64 v[44:45], v85 offset:12800
.LBB0_5:
	s_or_b32 exec_lo, exec_lo, s2
	s_waitcnt lgkmcnt(0)
	v_sub_f32_e32 v46, v15, v45
	v_add_f32_e32 v48, v44, v14
	v_sub_f32_e32 v47, v14, v44
	v_sub_f32_e32 v95, v37, v19
	v_add_f32_e32 v49, v45, v15
	v_mul_f32_e32 v57, 0xbeb8f4ab, v46
	v_add_f32_e32 v50, v18, v36
	v_sub_f32_e32 v99, v36, v18
	v_mul_f32_e32 v60, 0xbeb8f4ab, v47
	v_mul_f32_e32 v54, 0xbf2c7751, v95
	v_fmamk_f32 v0, v48, 0x3f6eb680, v57
	v_sub_f32_e32 v104, v39, v17
	v_add_f32_e32 v51, v19, v37
	v_mul_f32_e32 v58, 0xbf2c7751, v99
	v_fma_f32 v1, 0x3f6eb680, v49, -v60
	v_fmamk_f32 v2, v50, 0x3f3d2fb0, v54
	v_add_f32_e32 v0, v0, v12
	v_sub_f32_e32 v105, v38, v16
	v_add_f32_e32 v52, v16, v38
	v_mul_f32_e32 v59, 0xbf65296c, v104
	v_sub_f32_e32 v114, v33, v23
	v_fma_f32 v3, 0x3f3d2fb0, v51, -v58
	v_add_f32_e32 v1, v1, v13
	v_add_f32_e32 v0, v2, v0
	;; [unrolled: 1-line block ×3, first 2 shown]
	v_mul_f32_e32 v62, 0xbf65296c, v105
	v_fmamk_f32 v2, v52, 0x3ee437d1, v59
	v_sub_f32_e32 v115, v32, v22
	v_add_f32_e32 v55, v22, v32
	v_mul_f32_e32 v63, 0xbf7ee86f, v114
	v_sub_f32_e32 v116, v35, v21
	v_add_f32_e32 v1, v3, v1
	v_fma_f32 v3, 0x3ee437d1, v53, -v62
	v_add_f32_e32 v56, v23, v33
	v_mul_f32_e32 v67, 0xbf7ee86f, v115
	v_add_f32_e32 v0, v2, v0
	v_fmamk_f32 v2, v55, 0x3dbcf732, v63
	v_add_f32_e32 v61, v20, v34
	v_mul_f32_e32 v70, 0xbf763a35, v116
	v_sub_f32_e32 v117, v34, v20
	v_sub_f32_e32 v126, v41, v27
	v_add_f32_e32 v1, v3, v1
	v_fma_f32 v3, 0x3dbcf732, v56, -v67
	v_add_f32_e32 v0, v2, v0
	v_fmamk_f32 v2, v61, 0xbe8c1d8e, v70
	v_add_f32_e32 v69, v21, v35
	v_mul_f32_e32 v75, 0xbf763a35, v117
	v_add_f32_e32 v68, v26, v40
	v_mul_f32_e32 v74, 0xbf4c4adb, v126
	v_sub_f32_e32 v127, v40, v26
	v_sub_f32_e32 v134, v43, v25
	v_add_f32_e32 v1, v3, v1
	v_add_f32_e32 v0, v2, v0
	v_fma_f32 v2, 0xbe8c1d8e, v69, -v75
	v_fmamk_f32 v3, v68, 0xbf1a4643, v74
	v_add_f32_e32 v72, v27, v41
	v_mul_f32_e32 v78, 0xbf4c4adb, v127
	v_add_f32_e32 v71, v24, v42
	v_mul_f32_e32 v77, 0xbf06c442, v134
	v_sub_f32_e32 v136, v42, v24
	v_add_f32_e32 v1, v2, v1
	v_fma_f32 v2, 0xbf1a4643, v72, -v78
	v_add_f32_e32 v0, v3, v0
	v_fmamk_f32 v3, v71, 0xbf59a7d5, v77
	v_add_f32_e32 v73, v25, v43
	v_mul_f32_e32 v79, 0xbf06c442, v136
	v_sub_f32_e32 v146, v29, v31
	v_mul_f32_e32 v83, 0xbf2c7751, v46
	v_add_f32_e32 v1, v2, v1
	v_add_f32_e32 v0, v3, v0
	v_fma_f32 v2, 0xbf59a7d5, v73, -v79
	v_add_f32_e32 v76, v30, v28
	v_mul_f32_e32 v81, 0xbe3c28d5, v146
	v_fmamk_f32 v3, v48, 0x3f3d2fb0, v83
	v_mul_f32_e32 v84, 0xbf7ee86f, v95
	v_mul_f32_e32 v96, 0xbf2c7751, v47
	v_add_f32_e32 v1, v2, v1
	v_fmamk_f32 v2, v76, 0xbf7ba420, v81
	v_add_f32_e32 v3, v3, v12
	v_fmamk_f32 v4, v50, 0x3dbcf732, v84
	v_fma_f32 v5, 0x3f3d2fb0, v49, -v96
	v_mul_f32_e32 v98, 0xbf7ee86f, v99
	v_mul_f32_e32 v88, 0xbf4c4adb, v104
	v_add_f32_e32 v65, v2, v0
	v_add_f32_e32 v0, v4, v3
	;; [unrolled: 1-line block ×3, first 2 shown]
	v_fma_f32 v3, 0x3dbcf732, v51, -v98
	v_fmamk_f32 v4, v52, 0xbf1a4643, v88
	v_mul_f32_e32 v93, 0xbf4c4adb, v105
	v_mul_f32_e32 v89, 0xbe3c28d5, v114
	;; [unrolled: 1-line block ×3, first 2 shown]
	v_add_f32_e32 v2, v3, v2
	v_add_f32_e32 v0, v4, v0
	v_fma_f32 v3, 0xbf1a4643, v53, -v93
	v_fmamk_f32 v4, v55, 0xbf7ba420, v89
	v_mul_f32_e32 v90, 0x3f06c442, v116
	v_mul_f32_e32 v97, 0x3f06c442, v117
	;; [unrolled: 1-line block ×3, first 2 shown]
	v_add_f32_e32 v2, v3, v2
	v_add_f32_e32 v0, v4, v0
	v_fma_f32 v3, 0xbf7ba420, v56, -v94
	v_fmamk_f32 v4, v61, 0xbf59a7d5, v90
	v_sub_f32_e32 v148, v28, v30
	v_mul_f32_e32 v100, 0x3f763a35, v127
	v_mul_f32_e32 v113, 0xbf65296c, v46
	v_add_f32_e32 v2, v3, v2
	v_fma_f32 v3, 0xbf59a7d5, v69, -v97
	v_add_f32_e32 v0, v4, v0
	v_fmamk_f32 v4, v68, 0xbe8c1d8e, v92
	v_add_f32_e32 v80, v31, v29
	v_mul_f32_e32 v82, 0xbe3c28d5, v148
	v_add_f32_e32 v2, v3, v2
	v_fma_f32 v3, 0xbe8c1d8e, v72, -v100
	v_add_f32_e32 v0, v4, v0
	v_mul_f32_e32 v101, 0x3f65296c, v134
	v_mul_f32_e32 v102, 0x3f65296c, v136
	v_fmamk_f32 v4, v48, 0x3ee437d1, v113
	v_mul_f32_e32 v108, 0xbf4c4adb, v95
	v_fma_f32 v5, 0xbf7ba420, v80, -v82
	v_add_f32_e32 v2, v3, v2
	v_fmamk_f32 v3, v71, 0x3ee437d1, v101
	v_fma_f32 v6, 0x3ee437d1, v73, -v102
	v_add_f32_e32 v4, v4, v12
	v_fmamk_f32 v7, v50, 0xbf1a4643, v108
	v_mul_f32_e32 v106, 0x3e3c28d5, v104
	v_mul_f32_e32 v118, 0xbf65296c, v47
	v_add_f32_e32 v66, v5, v1
	v_add_f32_e32 v0, v3, v0
	;; [unrolled: 1-line block ×4, first 2 shown]
	v_fmamk_f32 v3, v52, 0xbf7ba420, v106
	v_mul_f32_e32 v107, 0x3f763a35, v114
	v_fma_f32 v5, 0x3ee437d1, v49, -v118
	v_mul_f32_e32 v119, 0xbf4c4adb, v99
	v_mul_f32_e32 v109, 0x3f2c7751, v116
	v_add_f32_e32 v2, v3, v2
	v_fmamk_f32 v3, v55, 0xbe8c1d8e, v107
	v_add_f32_e32 v5, v5, v13
	v_fma_f32 v6, 0xbf1a4643, v51, -v119
	v_mul_f32_e32 v120, 0x3e3c28d5, v105
	v_mul_f32_e32 v91, 0x3eb8f4ab, v146
	v_add_f32_e32 v2, v3, v2
	v_fmamk_f32 v3, v61, 0x3f3d2fb0, v109
	v_mul_f32_e32 v110, 0xbeb8f4ab, v126
	v_add_f32_e32 v5, v6, v5
	v_fma_f32 v6, 0xbf7ba420, v53, -v120
	v_mul_f32_e32 v121, 0x3f763a35, v115
	v_mul_f32_e32 v103, 0x3eb8f4ab, v148
	v_fmamk_f32 v4, v76, 0x3f6eb680, v91
	v_add_f32_e32 v2, v3, v2
	v_fmamk_f32 v3, v68, 0x3f6eb680, v110
	v_mul_f32_e32 v111, 0xbf7ee86f, v134
	v_add_f32_e32 v5, v6, v5
	v_fma_f32 v6, 0xbe8c1d8e, v56, -v121
	v_mul_f32_e32 v122, 0x3f2c7751, v117
	v_fma_f32 v7, 0x3f6eb680, v80, -v103
	v_add_f32_e32 v3, v3, v2
	v_fmamk_f32 v8, v71, 0x3dbcf732, v111
	v_add_f32_e32 v2, v4, v0
	v_mul_f32_e32 v112, 0xbf06c442, v146
	v_add_f32_e32 v4, v6, v5
	v_fma_f32 v5, 0x3f3d2fb0, v69, -v122
	v_mul_f32_e32 v123, 0xbeb8f4ab, v127
	v_mul_f32_e32 v131, 0xbf7ee86f, v46
	v_add_f32_e32 v0, v8, v3
	v_fmamk_f32 v6, v76, 0xbf59a7d5, v112
	v_add_f32_e32 v3, v7, v1
	v_add_f32_e32 v1, v5, v4
	v_fma_f32 v4, 0x3f6eb680, v72, -v123
	v_fmamk_f32 v5, v48, 0x3dbcf732, v131
	v_mul_f32_e32 v128, 0xbe3c28d5, v95
	v_mul_f32_e32 v140, 0xbf7ee86f, v47
	v_add_f32_e32 v0, v6, v0
	v_add_f32_e32 v1, v4, v1
	v_mul_f32_e32 v125, 0xbf7ee86f, v136
	v_add_f32_e32 v4, v5, v12
	v_fmamk_f32 v5, v50, 0xbf7ba420, v128
	v_fma_f32 v6, 0x3dbcf732, v49, -v140
	v_mul_f32_e32 v141, 0xbe3c28d5, v99
	v_mul_f32_e32 v129, 0x3f763a35, v104
	v_fma_f32 v7, 0x3dbcf732, v73, -v125
	v_add_f32_e32 v4, v5, v4
	v_add_f32_e32 v5, v6, v13
	v_fma_f32 v6, 0xbf7ba420, v51, -v141
	v_fmamk_f32 v8, v52, 0xbe8c1d8e, v129
	v_mul_f32_e32 v143, 0x3f763a35, v105
	v_mul_f32_e32 v130, 0x3eb8f4ab, v114
	v_add_f32_e32 v1, v7, v1
	v_add_f32_e32 v5, v6, v5
	;; [unrolled: 1-line block ×3, first 2 shown]
	v_fma_f32 v6, 0xbe8c1d8e, v53, -v143
	v_fmamk_f32 v7, v55, 0x3f6eb680, v130
	v_mul_f32_e32 v144, 0x3eb8f4ab, v115
	v_mul_f32_e32 v132, 0xbf65296c, v116
	;; [unrolled: 1-line block ×3, first 2 shown]
	v_add_f32_e32 v5, v6, v5
	v_add_f32_e32 v4, v7, v4
	v_fma_f32 v6, 0x3f6eb680, v56, -v144
	v_fmamk_f32 v7, v61, 0x3ee437d1, v132
	v_mul_f32_e32 v133, 0xbf06c442, v126
	v_mul_f32_e32 v139, 0xbf06c442, v127
	;; [unrolled: 1-line block ×3, first 2 shown]
	v_add_f32_e32 v5, v6, v5
	v_fma_f32 v6, 0x3ee437d1, v69, -v137
	v_add_f32_e32 v4, v7, v4
	v_fmamk_f32 v7, v68, 0xbf59a7d5, v133
	v_mul_f32_e32 v138, 0x3f4c4adb, v134
	v_mul_f32_e32 v152, 0x3f06c442, v95
	v_add_f32_e32 v5, v6, v5
	v_fma_f32 v6, 0xbf59a7d5, v72, -v139
	v_add_f32_e32 v4, v7, v4
	v_fmamk_f32 v7, v48, 0xbe8c1d8e, v151
	v_fmamk_f32 v9, v50, 0xbf59a7d5, v152
	v_mul_f32_e32 v153, 0x3f2c7751, v104
	v_add_f32_e32 v5, v6, v5
	v_fmamk_f32 v6, v71, 0xbf1a4643, v138
	v_add_f32_e32 v7, v7, v12
	v_mul_f32_e32 v150, 0xbf65296c, v114
	v_mul_f32_e32 v124, 0xbf06c442, v148
	;; [unrolled: 1-line block ×3, first 2 shown]
	v_add_f32_e32 v4, v6, v4
	v_add_f32_e32 v6, v9, v7
	v_fmamk_f32 v7, v52, 0x3f3d2fb0, v153
	v_mul_f32_e32 v154, 0xbe3c28d5, v116
	v_fma_f32 v8, 0xbf59a7d5, v80, -v124
	v_mul_f32_e32 v142, 0x3f4c4adb, v136
	v_fma_f32 v10, 0xbe8c1d8e, v49, -v163
	v_add_f32_e32 v6, v7, v6
	v_fmamk_f32 v7, v55, 0x3ee437d1, v150
	v_mul_f32_e32 v167, 0x3f06c442, v99
	v_mul_f32_e32 v155, 0x3f7ee86f, v126
	v_add_f32_e32 v1, v8, v1
	v_fma_f32 v8, 0xbf1a4643, v73, -v142
	v_add_f32_e32 v6, v7, v6
	v_fmamk_f32 v7, v61, 0xbf7ba420, v154
	v_mul_f32_e32 v135, 0x3f2c7751, v146
	v_add_f32_e32 v10, v10, v13
	v_fma_f32 v11, 0xbf59a7d5, v51, -v167
	v_mul_f32_e32 v165, 0x3f2c7751, v105
	v_add_f32_e32 v6, v7, v6
	v_fmamk_f32 v7, v68, 0x3dbcf732, v155
	v_mul_f32_e32 v149, 0xbeb8f4ab, v134
	v_add_f32_e32 v5, v8, v5
	v_fmamk_f32 v8, v76, 0x3f3d2fb0, v135
	v_add_f32_e32 v10, v11, v10
	v_fma_f32 v11, 0x3f3d2fb0, v53, -v165
	v_mul_f32_e32 v158, 0xbf65296c, v115
	v_add_f32_e32 v7, v7, v6
	v_fmamk_f32 v87, v71, 0x3f6eb680, v149
	v_mul_f32_e32 v147, 0xbf4c4adb, v146
	v_mul_f32_e32 v145, 0x3f2c7751, v148
	v_add_f32_e32 v10, v11, v10
	v_fma_f32 v11, 0x3ee437d1, v56, -v158
	v_mul_f32_e32 v159, 0xbe3c28d5, v117
	v_add_f32_e32 v6, v8, v4
	v_add_f32_e32 v4, v87, v7
	v_fmamk_f32 v8, v76, 0xbf1a4643, v147
	v_mul_f32_e32 v179, 0xbf4c4adb, v46
	v_fma_f32 v9, 0x3f3d2fb0, v80, -v145
	v_add_f32_e32 v10, v11, v10
	v_fma_f32 v11, 0xbf7ba420, v69, -v159
	v_add_f32_e32 v4, v8, v4
	v_mul_f32_e32 v166, 0x3f7ee86f, v127
	v_fmamk_f32 v8, v48, 0xbf1a4643, v179
	v_mul_f32_e32 v182, 0x3f763a35, v95
	v_add_f32_e32 v7, v9, v5
	v_add_f32_e32 v5, v11, v10
	v_fma_f32 v10, 0x3dbcf732, v72, -v166
	v_add_f32_e32 v8, v8, v12
	v_fmamk_f32 v11, v50, 0xbe8c1d8e, v182
	v_mul_f32_e32 v183, 0xbeb8f4ab, v104
	v_mul_f32_e32 v189, 0xbf4c4adb, v47
	v_add_f32_e32 v5, v10, v5
	v_mul_f32_e32 v184, 0xbf06c442, v114
	v_add_f32_e32 v8, v11, v8
	v_fmamk_f32 v10, v52, 0x3f6eb680, v183
	v_fma_f32 v9, 0xbf1a4643, v49, -v189
	v_mul_f32_e32 v191, 0x3f763a35, v99
	v_mul_f32_e32 v180, 0x3f7ee86f, v116
	;; [unrolled: 1-line block ×3, first 2 shown]
	v_add_f32_e32 v8, v10, v8
	v_fmamk_f32 v10, v55, 0xbf59a7d5, v184
	v_add_f32_e32 v9, v9, v13
	v_fma_f32 v87, 0xbe8c1d8e, v51, -v191
	v_mul_f32_e32 v181, 0xbf2c7751, v126
	v_mul_f32_e32 v192, 0xbeb8f4ab, v105
	v_add_f32_e32 v8, v10, v8
	v_fmamk_f32 v10, v61, 0x3dbcf732, v180
	v_add_f32_e32 v9, v87, v9
	v_fma_f32 v87, 0x3f6eb680, v73, -v170
	v_mul_f32_e32 v178, 0xbe3c28d5, v134
	v_mul_f32_e32 v194, 0xbf06c442, v46
	v_add_f32_e32 v8, v10, v8
	v_fmamk_f32 v10, v68, 0x3f3d2fb0, v181
	v_fma_f32 v11, 0x3f6eb680, v53, -v192
	v_mul_f32_e32 v193, 0xbf06c442, v115
	v_add_f32_e32 v5, v87, v5
	v_fmamk_f32 v87, v48, 0xbf59a7d5, v194
	v_add_f32_e32 v8, v10, v8
	v_fmamk_f32 v10, v71, 0xbf7ba420, v178
	v_mul_f32_e32 v195, 0x3f65296c, v95
	v_mul_f32_e32 v207, 0xbf06c442, v47
	v_add_f32_e32 v9, v11, v9
	v_fma_f32 v11, 0xbf59a7d5, v56, -v193
	v_mul_f32_e32 v186, 0x3f7ee86f, v117
	v_add_f32_e32 v87, v87, v12
	v_fmamk_f32 v157, v50, 0x3ee437d1, v195
	v_mul_f32_e32 v201, 0xbf7ee86f, v104
	v_add_f32_e32 v8, v10, v8
	v_fma_f32 v10, 0xbf59a7d5, v49, -v207
	v_mul_f32_e32 v209, 0x3f65296c, v99
	v_add_f32_e32 v9, v11, v9
	v_fma_f32 v11, 0x3dbcf732, v69, -v186
	v_mul_f32_e32 v188, 0xbf2c7751, v127
	v_add_f32_e32 v87, v157, v87
	v_fmamk_f32 v157, v52, 0x3dbcf732, v201
	v_mul_f32_e32 v199, 0x3f4c4adb, v114
	v_add_f32_e32 v10, v10, v13
	v_fma_f32 v160, 0x3ee437d1, v51, -v209
	;; [unrolled: 9-line block ×3, first 2 shown]
	v_mul_f32_e32 v205, 0x3f4c4adb, v115
	v_add_f32_e32 v9, v11, v9
	v_fma_f32 v11, 0xbf7ba420, v73, -v190
	v_add_f32_e32 v87, v157, v87
	v_fmamk_f32 v157, v61, 0x3f6eb680, v198
	v_mul_f32_e32 v196, 0xbe3c28d5, v126
	v_add_f32_e32 v10, v160, v10
	v_fma_f32 v160, 0xbf1a4643, v56, -v205
	v_mul_f32_e32 v204, 0xbeb8f4ab, v117
	v_add_f32_e32 v9, v11, v9
	v_add_f32_e32 v11, v157, v87
	v_fmamk_f32 v87, v68, 0xbf7ba420, v196
	v_add_f32_e32 v10, v160, v10
	v_fma_f32 v157, 0x3f6eb680, v69, -v204
	v_mul_f32_e32 v203, 0xbe3c28d5, v127
	v_mul_f32_e32 v197, 0x3f2c7751, v134
	v_add_f32_e32 v11, v87, v11
	v_mul_f32_e32 v202, 0x3f2c7751, v136
	v_add_f32_e32 v10, v157, v10
	v_fma_f32 v87, 0xbf7ba420, v72, -v203
	s_load_dwordx2 s[2:3], s[4:5], 0x8
	v_mul_f32_e32 v176, 0xbf4c4adb, v148
	v_mul_f32_e32 v185, 0x3f65296c, v146
	;; [unrolled: 1-line block ×3, first 2 shown]
	v_fmamk_f32 v157, v71, 0x3f3d2fb0, v197
	v_mul_f32_e32 v200, 0xbf763a35, v146
	v_add_f32_e32 v10, v87, v10
	v_fma_f32 v87, 0x3f3d2fb0, v73, -v202
	v_mul_f32_e32 v206, 0xbf763a35, v148
	v_fma_f32 v156, 0xbf1a4643, v80, -v176
	v_fmamk_f32 v160, v76, 0x3ee437d1, v185
	v_fma_f32 v161, 0x3ee437d1, v80, -v187
	v_add_f32_e32 v157, v157, v11
	v_fmamk_f32 v162, v76, 0xbe8c1d8e, v200
	v_add_f32_e32 v87, v87, v10
	v_fma_f32 v164, 0xbe8c1d8e, v80, -v206
	v_add_f32_e32 v5, v156, v5
	v_add_f32_e32 v10, v160, v8
	;; [unrolled: 1-line block ×5, first 2 shown]
	v_mul_lo_u16 v235, v86, 17
	s_waitcnt lgkmcnt(0)
	s_barrier
	buffer_gl0_inv
	s_and_saveexec_b32 s4, vcc_lo
	s_cbranch_execz .LBB0_7
; %bb.6:
	v_mul_f32_e32 v171, 0xbe3c28d5, v47
	v_mul_f32_e32 v172, 0xbe3c28d5, v46
	;; [unrolled: 1-line block ×5, first 2 shown]
	v_fmamk_f32 v46, v49, 0xbf7ba420, v171
	v_fma_f32 v47, 0xbf7ba420, v48, -v172
	v_fmamk_f32 v175, v51, 0x3f6eb680, v173
	v_fma_f32 v105, 0x3f6eb680, v50, -v95
	v_mul_f32_e32 v99, 0xbf06c442, v104
	v_add_f32_e32 v46, v46, v13
	v_add_f32_e32 v47, v47, v12
	v_fmamk_f32 v254, v53, 0xbf59a7d5, v174
	v_mul_f32_e32 v104, 0x3f2c7751, v114
	v_mul_f32_e32 v219, 0xbf59a7d5, v48
	v_add_f32_e32 v46, v175, v46
	v_mul_f32_e32 v175, 0x3f2c7751, v115
	v_add_f32_e32 v47, v105, v47
	v_fma_f32 v105, 0xbf59a7d5, v52, -v99
	v_mul_f32_e32 v117, 0xbf4c4adb, v117
	v_add_f32_e32 v46, v254, v46
	v_fmamk_f32 v114, v56, 0x3f3d2fb0, v175
	v_fma_f32 v115, 0x3f3d2fb0, v55, -v104
	v_add_f32_e32 v47, v105, v47
	v_mul_f32_e32 v105, 0xbf4c4adb, v116
	v_mul_f32_e32 v220, 0xbf59a7d5, v49
	;; [unrolled: 1-line block ×3, first 2 shown]
	v_add_f32_e32 v46, v114, v46
	v_fmamk_f32 v254, v69, 0xbf1a4643, v117
	v_mul_f32_e32 v116, 0x3f65296c, v127
	v_add_f32_e32 v47, v115, v47
	v_fma_f32 v115, 0xbf1a4643, v61, -v105
	v_mul_f32_e32 v114, 0x3f65296c, v126
	v_sub_f32_e32 v194, v219, v194
	v_mul_f32_e32 v232, 0x3ee437d1, v51
	v_mul_f32_e32 v243, 0x3dbcf732, v52
	v_add_f32_e32 v46, v254, v46
	v_fmamk_f32 v126, v72, 0x3ee437d1, v116
	v_add_f32_e32 v47, v115, v47
	v_fma_f32 v115, 0x3ee437d1, v68, -v114
	v_add_f32_e32 v207, v207, v220
	v_sub_f32_e32 v195, v231, v195
	v_add_f32_e32 v194, v194, v12
	v_mul_f32_e32 v244, 0x3dbcf732, v53
	v_mul_f32_e32 v255, 0xbf1a4643, v55
	v_add_f32_e32 v46, v126, v46
	v_add_f32_e32 v47, v115, v47
	v_mul_f32_e32 v115, 0xbf763a35, v134
	v_mul_f32_e32 v134, 0x3f7ee86f, v148
	v_add_f32_e32 v148, v209, v232
	v_mul_f32_e32 v126, 0x3f7ee86f, v146
	v_add_f32_e32 v146, v207, v13
	v_add_f32_e32 v194, v195, v194
	v_sub_f32_e32 v201, v243, v201
	v_add_f32_e32 v15, v15, v13
	v_mul_f32_e32 v211, 0x3ee437d1, v48
	v_mul_f32_e32 v87, 0xbf1a4643, v56
	v_add_f32_e32 v146, v148, v146
	v_add_f32_e32 v208, v208, v244
	v_mul_f32_e32 v195, 0xbf7ba420, v72
	v_add_f32_e32 v194, v201, v194
	v_sub_f32_e32 v199, v255, v199
	v_add_f32_e32 v14, v14, v12
	v_add_f32_e32 v15, v37, v15
	v_mul_f32_e32 v210, 0x3f3d2fb0, v49
	v_mul_f32_e32 v218, 0xbf1a4643, v49
	;; [unrolled: 1-line block ×4, first 2 shown]
	v_add_f32_e32 v146, v208, v146
	v_add_f32_e32 v87, v205, v87
	v_mul_f32_e32 v205, 0x3f6eb680, v69
	v_add_f32_e32 v195, v203, v195
	v_mul_f32_e32 v203, 0x3f6eb680, v61
	v_add_f32_e32 v194, v199, v194
	v_mul_f32_e32 v199, 0xbe8c1d8e, v80
	v_sub_f32_e32 v113, v211, v113
	v_add_f32_e32 v14, v36, v14
	v_add_f32_e32 v15, v39, v15
	v_mul_f32_e32 v177, 0x3f3d2fb0, v48
	v_mul_f32_e32 v222, 0x3dbcf732, v51
	v_mul_f32_e32 v230, 0xbe8c1d8e, v51
	v_mul_f32_e32 v64, 0xbf7ba420, v52
	v_fmamk_f32 v220, v73, 0xbe8c1d8e, v127
	v_fma_f32 v209, 0xbe8c1d8e, v71, -v115
	v_add_f32_e32 v87, v87, v146
	v_add_f32_e32 v204, v204, v205
	v_sub_f32_e32 v198, v203, v198
	v_add_f32_e32 v199, v206, v199
	v_mul_f32_e32 v206, 0xbf7ba420, v68
	v_add_f32_e32 v189, v189, v218
	v_add_f32_e32 v96, v96, v210
	;; [unrolled: 1-line block ×3, first 2 shown]
	v_sub_f32_e32 v108, v223, v108
	v_add_f32_e32 v14, v38, v14
	v_add_f32_e32 v15, v33, v15
	v_mul_f32_e32 v221, 0x3dbcf732, v50
	v_mul_f32_e32 v234, 0xbf1a4643, v53
	v_mul_f32_e32 v247, 0xbe8c1d8e, v55
	v_add_f32_e32 v46, v220, v46
	v_fmamk_f32 v207, v80, 0x3dbcf732, v134
	v_add_f32_e32 v209, v209, v47
	v_fma_f32 v220, 0x3dbcf732, v76, -v126
	v_add_f32_e32 v87, v204, v87
	v_mul_f32_e32 v201, 0x3f3d2fb0, v73
	v_add_f32_e32 v194, v198, v194
	v_sub_f32_e32 v196, v206, v196
	v_mul_f32_e32 v206, 0x3f3d2fb0, v71
	v_add_f32_e32 v191, v191, v230
	v_add_f32_e32 v189, v189, v13
	;; [unrolled: 1-line block ×4, first 2 shown]
	v_sub_f32_e32 v83, v177, v83
	v_add_f32_e32 v108, v108, v113
	v_sub_f32_e32 v106, v64, v106
	v_add_f32_e32 v14, v32, v14
	v_mul_f32_e32 v216, 0xbe8c1d8e, v49
	v_add_f32_e32 v15, v35, v15
	v_mul_f32_e32 v233, 0xbf1a4643, v52
	v_mul_f32_e32 v246, 0xbf7ba420, v56
	v_add_f32_e32 v47, v207, v46
	v_add_f32_e32 v46, v220, v209
	v_mul_f32_e32 v209, 0x3f3d2fb0, v61
	v_add_f32_e32 v87, v195, v87
	v_add_f32_e32 v201, v202, v201
	;; [unrolled: 1-line block ×3, first 2 shown]
	v_sub_f32_e32 v197, v206, v197
	v_add_f32_e32 v189, v191, v189
	v_mul_f32_e32 v191, 0xbe8c1d8e, v76
	v_add_f32_e32 v96, v98, v96
	v_add_f32_e32 v93, v93, v234
	;; [unrolled: 1-line block ×3, first 2 shown]
	v_sub_f32_e32 v84, v221, v84
	v_add_f32_e32 v98, v106, v108
	v_sub_f32_e32 v106, v247, v107
	v_add_f32_e32 v14, v34, v14
	v_mul_f32_e32 v228, 0xbf59a7d5, v51
	v_add_f32_e32 v163, v163, v216
	v_add_f32_e32 v15, v41, v15
	v_mul_f32_e32 v245, 0xbf7ba420, v55
	v_mul_f32_e32 v207, 0xbf59a7d5, v69
	v_add_f32_e32 v87, v201, v87
	v_mul_f32_e32 v201, 0x3f6eb680, v68
	v_add_f32_e32 v194, v197, v194
	v_sub_f32_e32 v191, v191, v200
	v_add_f32_e32 v93, v93, v96
	v_add_f32_e32 v94, v94, v246
	;; [unrolled: 1-line block ×3, first 2 shown]
	v_sub_f32_e32 v84, v233, v88
	v_add_f32_e32 v88, v106, v98
	v_sub_f32_e32 v96, v209, v109
	v_add_f32_e32 v14, v40, v14
	v_mul_f32_e32 v214, 0x3dbcf732, v49
	v_mul_f32_e32 v215, 0xbe8c1d8e, v48
	;; [unrolled: 1-line block ×4, first 2 shown]
	v_add_f32_e32 v167, v167, v228
	v_add_f32_e32 v163, v163, v13
	;; [unrolled: 1-line block ×3, first 2 shown]
	v_mul_f32_e32 v164, 0x3f6eb680, v48
	v_mul_f32_e32 v241, 0x3f6eb680, v52
	;; [unrolled: 1-line block ×4, first 2 shown]
	v_add_f32_e32 v191, v191, v194
	v_mul_f32_e32 v194, 0x3dbcf732, v71
	v_add_f32_e32 v93, v94, v93
	v_add_f32_e32 v94, v97, v207
	;; [unrolled: 1-line block ×3, first 2 shown]
	v_sub_f32_e32 v84, v245, v89
	v_add_f32_e32 v88, v96, v88
	v_sub_f32_e32 v89, v201, v110
	v_add_f32_e32 v14, v42, v14
	v_mul_f32_e32 v226, 0xbf7ba420, v51
	v_add_f32_e32 v140, v140, v214
	v_mul_f32_e32 v227, 0xbf59a7d5, v50
	v_mul_f32_e32 v252, 0x3ee437d1, v56
	;; [unrolled: 1-line block ×3, first 2 shown]
	v_add_f32_e32 v192, v192, v242
	v_add_f32_e32 v163, v167, v163
	;; [unrolled: 1-line block ×3, first 2 shown]
	v_sub_f32_e32 v151, v215, v151
	v_add_f32_e32 v15, v29, v15
	v_mul_f32_e32 v169, 0x3f6eb680, v49
	v_mul_f32_e32 v160, 0x3f3d2fb0, v50
	v_mov_b32_e32 v156, v54
	v_mul_f32_e32 v54, 0xbe8c1d8e, v52
	v_mul_f32_e32 v202, 0xbe8c1d8e, v68
	v_sub_f32_e32 v183, v241, v183
	v_mul_f32_e32 v241, 0xbf59a7d5, v76
	v_add_f32_e32 v93, v94, v93
	v_add_f32_e32 v94, v100, v203
	v_add_f32_e32 v83, v84, v83
	v_sub_f32_e32 v84, v232, v90
	v_add_f32_e32 v88, v89, v88
	v_sub_f32_e32 v89, v194, v111
	v_sub_f32_e32 v57, v164, v57
	v_add_f32_e32 v14, v28, v14
	v_mul_f32_e32 v212, 0x3ee437d1, v49
	v_mul_f32_e32 v213, 0x3dbcf732, v48
	;; [unrolled: 1-line block ×3, first 2 shown]
	v_add_f32_e32 v140, v140, v13
	v_add_f32_e32 v141, v141, v226
	v_mul_f32_e32 v239, 0x3f3d2fb0, v52
	v_mul_f32_e32 v205, 0xbf7ba420, v69
	;; [unrolled: 1-line block ×3, first 2 shown]
	v_add_f32_e32 v189, v192, v189
	v_add_f32_e32 v193, v193, v254
	;; [unrolled: 1-line block ×5, first 2 shown]
	v_sub_f32_e32 v152, v227, v152
	v_mul_f32_e32 v217, 0xbf1a4643, v48
	v_add_f32_e32 v31, v31, v15
	v_mul_f32_e32 v168, 0x3f3d2fb0, v51
	v_sub_f32_e32 v129, v54, v129
	v_add_f32_e32 v90, v94, v93
	v_add_f32_e32 v83, v84, v83
	v_sub_f32_e32 v84, v202, v92
	v_add_f32_e32 v88, v89, v88
	v_sub_f32_e32 v89, v241, v112
	v_add_f32_e32 v94, v60, v169
	v_add_f32_e32 v57, v57, v12
	v_sub_f32_e32 v54, v160, v156
	v_add_f32_e32 v30, v30, v14
	v_mul_f32_e32 v224, 0xbf1a4643, v51
	v_mul_f32_e32 v225, 0xbf7ba420, v50
	;; [unrolled: 1-line block ×3, first 2 shown]
	v_add_f32_e32 v140, v141, v140
	v_add_f32_e32 v141, v143, v238
	v_sub_f32_e32 v131, v213, v131
	v_add_f32_e32 v118, v118, v212
	v_mul_f32_e32 v251, 0x3ee437d1, v55
	v_mul_f32_e32 v206, 0x3dbcf732, v72
	v_add_f32_e32 v189, v193, v189
	v_add_f32_e32 v186, v186, v204
	v_add_f32_e32 v158, v158, v163
	v_add_f32_e32 v159, v159, v205
	v_add_f32_e32 v152, v152, v165
	v_sub_f32_e32 v153, v239, v153
	v_mul_f32_e32 v229, 0xbe8c1d8e, v50
	v_sub_f32_e32 v179, v217, v179
	v_add_f32_e32 v25, v25, v31
	v_fma_f32 v31, 0xbf7ba420, v49, -v171
	v_fmac_f32_e32 v172, 0xbf7ba420, v48
	v_mul_f32_e32 v157, 0x3ee437d1, v53
	v_add_f32_e32 v92, v84, v83
	v_add_f32_e32 v83, v89, v88
	;; [unrolled: 1-line block ×5, first 2 shown]
	v_mul_f32_e32 v57, 0x3ee437d1, v52
	v_add_f32_e32 v24, v24, v30
	v_mul_f32_e32 v237, 0xbf7ba420, v53
	v_mul_f32_e32 v220, 0x3ee437d1, v69
	v_add_f32_e32 v141, v141, v140
	v_add_f32_e32 v144, v144, v250
	;; [unrolled: 1-line block ×3, first 2 shown]
	v_sub_f32_e32 v128, v225, v128
	v_add_f32_e32 v118, v118, v13
	v_add_f32_e32 v119, v119, v224
	v_mul_f32_e32 v146, 0xbf7ba420, v61
	v_add_f32_e32 v186, v186, v189
	v_mul_f32_e32 v189, 0x3f6eb680, v73
	v_add_f32_e32 v158, v159, v158
	v_add_f32_e32 v159, v166, v206
	;; [unrolled: 1-line block ×3, first 2 shown]
	v_sub_f32_e32 v150, v251, v150
	v_sub_f32_e32 v182, v229, v182
	v_add_f32_e32 v179, v179, v12
	v_add_f32_e32 v25, v27, v25
	v_add_f32_e32 v13, v31, v13
	v_fma_f32 v27, 0x3f6eb680, v51, -v173
	v_add_f32_e32 v12, v172, v12
	v_fmac_f32_e32 v95, 0x3f6eb680, v50
	v_mul_f32_e32 v161, 0x3dbcf732, v55
	v_mul_f32_e32 v162, 0x3dbcf732, v56
	v_add_f32_e32 v58, v58, v88
	v_add_f32_e32 v37, v62, v157
	v_sub_f32_e32 v57, v57, v59
	v_add_f32_e32 v24, v26, v24
	v_mul_f32_e32 v248, 0xbe8c1d8e, v56
	v_mul_f32_e32 v249, 0x3f6eb680, v55
	;; [unrolled: 1-line block ×3, first 2 shown]
	v_add_f32_e32 v141, v144, v141
	v_add_f32_e32 v137, v137, v220
	;; [unrolled: 1-line block ×5, first 2 shown]
	v_mul_f32_e32 v196, 0x3dbcf732, v68
	v_mul_f32_e32 v228, 0xbf1a4643, v80
	v_add_f32_e32 v153, v159, v158
	v_add_f32_e32 v158, v170, v189
	;; [unrolled: 1-line block ×3, first 2 shown]
	v_sub_f32_e32 v146, v146, v154
	v_mul_f32_e32 v253, 0xbf59a7d5, v55
	v_add_f32_e32 v179, v182, v179
	v_add_f32_e32 v21, v21, v25
	;; [unrolled: 1-line block ×3, first 2 shown]
	v_fma_f32 v25, 0xbf59a7d5, v53, -v174
	v_add_f32_e32 v12, v95, v12
	v_fmac_f32_e32 v99, 0xbf59a7d5, v52
	v_mul_f32_e32 v136, 0xbe8c1d8e, v61
	v_mul_f32_e32 v148, 0xbe8c1d8e, v69
	v_add_f32_e32 v36, v37, v58
	v_add_f32_e32 v37, v67, v162
	;; [unrolled: 1-line block ×3, first 2 shown]
	v_sub_f32_e32 v33, v161, v63
	v_add_f32_e32 v20, v20, v24
	v_mul_f32_e32 v208, 0x3f3d2fb0, v69
	v_mul_f32_e32 v219, 0x3ee437d1, v61
	;; [unrolled: 1-line block ×4, first 2 shown]
	v_add_f32_e32 v137, v137, v141
	v_add_f32_e32 v131, v139, v230
	;; [unrolled: 1-line block ×3, first 2 shown]
	v_sub_f32_e32 v129, v249, v130
	v_add_f32_e32 v118, v119, v118
	v_add_f32_e32 v119, v121, v248
	v_mul_f32_e32 v231, 0x3dbcf732, v61
	v_mul_f32_e32 v217, 0x3f6eb680, v71
	v_add_f32_e32 v143, v158, v153
	v_add_f32_e32 v152, v176, v228
	;; [unrolled: 1-line block ×3, first 2 shown]
	v_sub_f32_e32 v153, v196, v155
	v_add_f32_e32 v179, v183, v179
	v_sub_f32_e32 v183, v253, v184
	v_add_f32_e32 v21, v23, v21
	v_add_f32_e32 v13, v25, v13
	v_fma_f32 v23, 0x3f3d2fb0, v56, -v175
	v_add_f32_e32 v12, v99, v12
	v_fmac_f32_e32 v104, 0x3f3d2fb0, v55
	v_mul_f32_e32 v243, 0xbf1a4643, v68
	v_mul_f32_e32 v195, 0xbf1a4643, v72
	v_add_f32_e32 v36, v37, v36
	v_add_f32_e32 v37, v75, v148
	;; [unrolled: 1-line block ×3, first 2 shown]
	v_sub_f32_e32 v33, v136, v70
	v_add_f32_e32 v20, v22, v20
	v_mul_f32_e32 v198, 0x3f6eb680, v72
	v_add_f32_e32 v192, v199, v87
	v_mul_f32_e32 v87, 0x3ee437d1, v73
	;; [unrolled: 2-line block ×3, first 2 shown]
	v_mul_f32_e32 v216, 0x3f3d2fb0, v80
	v_add_f32_e32 v130, v131, v137
	v_add_f32_e32 v121, v142, v204
	;; [unrolled: 1-line block ×3, first 2 shown]
	v_sub_f32_e32 v129, v219, v132
	v_add_f32_e32 v118, v119, v118
	v_add_f32_e32 v119, v122, v208
	v_mul_f32_e32 v218, 0xbf59a7d5, v68
	v_sub_f32_e32 v180, v231, v180
	v_mul_f32_e32 v231, 0xbf1a4643, v76
	v_add_f32_e32 v140, v152, v143
	v_add_f32_e32 v143, v153, v146
	v_sub_f32_e32 v144, v217, v149
	v_mul_f32_e32 v242, 0x3f3d2fb0, v68
	v_add_f32_e32 v179, v183, v179
	v_add_f32_e32 v17, v17, v21
	;; [unrolled: 1-line block ×3, first 2 shown]
	v_fma_f32 v21, 0xbf1a4643, v69, -v117
	v_add_f32_e32 v12, v104, v12
	v_fmac_f32_e32 v105, 0xbf1a4643, v61
	v_mul_f32_e32 v200, 0xbf59a7d5, v71
	v_mul_f32_e32 v244, 0xbf59a7d5, v73
	v_add_f32_e32 v35, v37, v36
	v_add_f32_e32 v34, v78, v195
	;; [unrolled: 1-line block ×3, first 2 shown]
	v_sub_f32_e32 v33, v243, v74
	v_add_f32_e32 v16, v16, v20
	v_mul_f32_e32 v254, 0x3ee437d1, v71
	v_mul_f32_e32 v193, 0x3dbcf732, v73
	v_add_f32_e32 v186, v188, v186
	v_add_f32_e32 v182, v190, v182
	v_mul_f32_e32 v184, 0x3f6eb680, v80
	v_add_f32_e32 v121, v121, v130
	v_add_f32_e32 v122, v129, v128
	;; [unrolled: 1-line block ×6, first 2 shown]
	v_mul_f32_e32 v199, 0xbf1a4643, v71
	v_add_f32_e32 v120, v144, v143
	v_sub_f32_e32 v131, v231, v147
	v_sub_f32_e32 v128, v218, v133
	v_mul_f32_e32 v197, 0xbf7ba420, v71
	v_add_f32_e32 v179, v180, v179
	v_mul_f32_e32 v180, 0x3ee437d1, v80
	v_sub_f32_e32 v181, v242, v181
	v_add_f32_e32 v17, v19, v17
	v_add_f32_e32 v19, v21, v13
	v_fma_f32 v20, 0x3ee437d1, v72, -v116
	v_add_f32_e32 v12, v105, v12
	v_fmac_f32_e32 v114, 0x3ee437d1, v68
	v_mul_f32_e32 v229, 0xbf7ba420, v76
	v_mul_f32_e32 v188, 0xbf7ba420, v80
	v_add_f32_e32 v34, v34, v35
	v_add_f32_e32 v35, v79, v244
	;; [unrolled: 1-line block ×3, first 2 shown]
	v_sub_f32_e32 v29, v200, v77
	v_add_f32_e32 v16, v18, v16
	v_mul_f32_e32 v190, 0x3f6eb680, v76
	v_add_f32_e32 v182, v182, v186
	v_mul_f32_e32 v186, 0xbf59a7d5, v80
	v_add_f32_e32 v118, v129, v121
	v_add_f32_e32 v119, v123, v119
	;; [unrolled: 1-line block ×5, first 2 shown]
	v_sub_f32_e32 v93, v254, v101
	v_mul_f32_e32 v183, 0x3f3d2fb0, v76
	v_add_f32_e32 v139, v131, v120
	v_add_f32_e32 v120, v128, v122
	v_sub_f32_e32 v122, v199, v138
	v_mul_f32_e32 v242, 0x3ee437d1, v76
	v_add_f32_e32 v167, v187, v180
	v_add_f32_e32 v179, v181, v179
	v_sub_f32_e32 v178, v197, v178
	v_add_f32_e32 v13, v45, v17
	v_add_f32_e32 v17, v20, v19
	v_fma_f32 v18, 0xbe8c1d8e, v73, -v127
	v_add_f32_e32 v19, v114, v12
	v_fmac_f32_e32 v115, 0xbe8c1d8e, v71
	v_add_f32_e32 v33, v35, v34
	v_add_f32_e32 v34, v82, v188
	;; [unrolled: 1-line block ×3, first 2 shown]
	v_sub_f32_e32 v29, v229, v81
	v_add_f32_e32 v12, v44, v16
	v_mov_b32_e32 v16, 3
	v_add_f32_e32 v119, v121, v119
	v_add_f32_e32 v121, v124, v186
	;; [unrolled: 1-line block ×4, first 2 shown]
	v_sub_f32_e32 v89, v190, v91
	v_add_f32_e32 v120, v122, v120
	v_sub_f32_e32 v122, v183, v135
	v_add_f32_e32 v151, v167, v182
	v_add_f32_e32 v167, v178, v179
	v_sub_f32_e32 v163, v242, v185
	v_add_f32_e32 v17, v18, v17
	v_fma_f32 v18, 0x3dbcf732, v80, -v134
	v_add_f32_e32 v19, v115, v19
	v_fmac_f32_e32 v126, 0x3dbcf732, v76
	v_add_f32_e32 v15, v34, v33
	v_add_f32_e32 v14, v29, v28
	v_lshlrev_b32_sdwa v20, v16, v235 dst_sel:DWORD dst_unused:UNUSED_PAD src0_sel:DWORD src1_sel:WORD_0
	v_add_f32_e32 v84, v121, v119
	v_add_f32_e32 v59, v89, v87
	;; [unrolled: 1-line block ×6, first 2 shown]
	ds_write2_b64 v20, v[12:13], v[14:15] offset1:1
	ds_write2_b64 v20, v[59:60], v[83:84] offset0:2 offset1:3
	ds_write2_b64 v20, v[117:118], v[139:140] offset0:4 offset1:5
	;; [unrolled: 1-line block ×7, first 2 shown]
	ds_write_b64 v20, v[65:66] offset:128
.LBB0_7:
	s_or_b32 exec_lo, exec_lo, s4
	v_and_b32_e32 v12, 0xff, v86
	s_load_dwordx4 s[4:7], s[0:1], 0x0
	s_waitcnt lgkmcnt(0)
	s_barrier
	buffer_gl0_inv
	v_mul_lo_u16 v12, 0xf1, v12
	v_add_nc_u32_e32 v71, 0x800, v85
	v_add_nc_u32_e32 v74, 0x1400, v85
	;; [unrolled: 1-line block ×3, first 2 shown]
	v_mov_b32_e32 v45, 0xaa
	v_lshrrev_b16 v44, 12, v12
	v_add_nc_u32_e32 v72, 0x2800, v85
	v_mad_u64_u32 v[48:49], null, 0x48, v86, s[2:3]
	v_mul_lo_u16 v12, v44, 17
	v_mul_u32_u24_sdwa v51, v44, v45 dst_sel:DWORD dst_unused:UNUSED_PAD src0_sel:WORD_0 src1_sel:DWORD
	v_sub_nc_u16 v12, v86, v12
	v_and_b32_e32 v50, 0xff, v12
	v_mad_u64_u32 v[28:29], null, 0x48, v50, s[2:3]
	v_add_lshl_u32 v88, v51, v50, 3
	s_clause 0x4
	global_load_dwordx4 v[24:27], v[28:29], off
	global_load_dwordx4 v[20:23], v[28:29], off offset:16
	global_load_dwordx4 v[16:19], v[28:29], off offset:32
	;; [unrolled: 1-line block ×3, first 2 shown]
	global_load_dwordx2 v[67:68], v[28:29], off offset:64
	ds_read2_b64 v[28:31], v85 offset1:170
	ds_read2_b64 v[32:35], v71 offset0:84 offset1:254
	ds_read2_b64 v[36:39], v74 offset0:40 offset1:210
	;; [unrolled: 1-line block ×4, first 2 shown]
	s_waitcnt vmcnt(0) lgkmcnt(0)
	s_barrier
	buffer_gl0_inv
	v_mul_f32_e32 v50, v31, v25
	v_mul_f32_e32 v51, v30, v25
	;; [unrolled: 1-line block ×18, first 2 shown]
	v_fma_f32 v50, v30, v24, -v50
	v_fmac_f32_e32 v51, v31, v24
	v_fma_f32 v30, v32, v26, -v52
	v_fmac_f32_e32 v53, v33, v26
	;; [unrolled: 2-line block ×9, first 2 shown]
	v_add_f32_e32 v38, v28, v30
	v_sub_f32_e32 v42, v30, v32
	v_sub_f32_e32 v43, v36, v34
	v_add_f32_e32 v44, v30, v36
	v_sub_f32_e32 v56, v53, v57
	v_sub_f32_e32 v58, v70, v61
	v_add_f32_e32 v69, v50, v31
	v_add_f32_e32 v75, v33, v35
	;; [unrolled: 1-line block ×4, first 2 shown]
	v_sub_f32_e32 v40, v53, v70
	v_sub_f32_e32 v45, v32, v30
	;; [unrolled: 1-line block ×3, first 2 shown]
	v_add_f32_e32 v47, v29, v53
	v_add_f32_e32 v52, v57, v61
	;; [unrolled: 1-line block ×3, first 2 shown]
	v_sub_f32_e32 v53, v57, v53
	v_sub_f32_e32 v62, v61, v70
	v_add_f32_e32 v81, v31, v37
	v_add_f32_e32 v84, v51, v55
	;; [unrolled: 1-line block ×3, first 2 shown]
	v_sub_f32_e32 v54, v32, v34
	v_sub_f32_e32 v77, v55, v76
	;; [unrolled: 1-line block ×6, first 2 shown]
	v_add_f32_e32 v32, v38, v32
	v_add_f32_e32 v38, v42, v43
	v_fma_f32 v43, -0.5, v44, v28
	v_add_f32_e32 v42, v56, v58
	v_add_f32_e32 v33, v69, v33
	v_fma_f32 v44, -0.5, v75, v50
	v_fma_f32 v56, -0.5, v87, v51
	v_sub_f32_e32 v78, v59, v63
	v_fma_f32 v94, -0.5, v39, v28
	v_add_f32_e32 v28, v45, v46
	v_add_f32_e32 v39, v47, v57
	v_fma_f32 v47, -0.5, v52, v29
	v_fma_f32 v45, -0.5, v60, v29
	v_add_f32_e32 v29, v53, v62
	v_fmac_f32_e32 v50, -0.5, v81
	v_add_f32_e32 v53, v84, v59
	v_fmac_f32_e32 v51, -0.5, v92
	v_sub_f32_e32 v80, v37, v35
	v_sub_f32_e32 v83, v35, v37
	;; [unrolled: 1-line block ×4, first 2 shown]
	v_add_f32_e32 v33, v33, v35
	v_fmamk_f32 v35, v77, 0x3f737871, v44
	v_fmamk_f32 v62, v31, 0xbf737871, v56
	v_sub_f32_e32 v41, v57, v61
	v_sub_f32_e32 v55, v59, v55
	;; [unrolled: 1-line block ×3, first 2 shown]
	v_add_f32_e32 v32, v32, v34
	v_add_f32_e32 v34, v39, v61
	v_fmamk_f32 v39, v78, 0xbf737871, v50
	v_fmac_f32_e32 v50, 0x3f737871, v78
	v_add_f32_e32 v53, v53, v63
	v_fmamk_f32 v63, v89, 0x3f737871, v51
	v_fmac_f32_e32 v51, 0xbf737871, v89
	v_fmac_f32_e32 v44, 0xbf737871, v77
	;; [unrolled: 1-line block ×3, first 2 shown]
	v_sub_f32_e32 v30, v30, v36
	v_add_f32_e32 v46, v79, v80
	v_add_f32_e32 v57, v90, v91
	v_fmac_f32_e32 v35, 0x3f167918, v78
	v_fmac_f32_e32 v62, 0xbf167918, v89
	v_add_f32_e32 v52, v82, v83
	v_add_f32_e32 v55, v55, v93
	v_fmamk_f32 v59, v41, 0xbf737871, v43
	v_fmac_f32_e32 v43, 0x3f737871, v41
	v_fmamk_f32 v61, v54, 0x3f737871, v45
	v_fmac_f32_e32 v45, 0xbf737871, v54
	v_fmac_f32_e32 v39, 0x3f167918, v77
	;; [unrolled: 1-line block ×7, first 2 shown]
	v_fmamk_f32 v58, v40, 0x3f737871, v94
	v_fmamk_f32 v60, v30, 0xbf737871, v47
	v_fmac_f32_e32 v35, 0x3e9e377a, v46
	v_fmac_f32_e32 v62, 0x3e9e377a, v57
	v_fmac_f32_e32 v94, 0xbf737871, v40
	v_fmac_f32_e32 v47, 0x3f737871, v30
	v_add_f32_e32 v32, v32, v36
	v_fmac_f32_e32 v59, 0x3f167918, v40
	v_fmac_f32_e32 v43, 0xbf167918, v40
	v_add_f32_e32 v34, v34, v70
	v_fmac_f32_e32 v61, 0xbf167918, v30
	v_fmac_f32_e32 v45, 0x3f167918, v30
	v_add_f32_e32 v30, v33, v37
	v_add_f32_e32 v33, v53, v76
	v_fmac_f32_e32 v39, 0x3e9e377a, v52
	v_fmac_f32_e32 v50, 0x3e9e377a, v52
	;; [unrolled: 1-line block ×8, first 2 shown]
	v_mul_f32_e32 v40, 0x3f167918, v62
	v_mul_f32_e32 v52, 0xbf167918, v35
	v_fmac_f32_e32 v94, 0xbf167918, v41
	v_fmac_f32_e32 v59, 0x3e9e377a, v28
	;; [unrolled: 1-line block ×5, first 2 shown]
	v_add_f32_e32 v28, v32, v30
	v_add_f32_e32 v29, v34, v33
	v_sub_f32_e32 v30, v32, v30
	v_sub_f32_e32 v31, v34, v33
	v_mul_f32_e32 v41, 0x3f737871, v63
	v_mul_f32_e32 v32, 0x3e9e377a, v50
	;; [unrolled: 1-line block ×4, first 2 shown]
	v_fmac_f32_e32 v47, 0x3f167918, v54
	v_mul_f32_e32 v33, 0x3f4f1bbd, v44
	v_mul_f32_e32 v36, 0x3f4f1bbd, v56
	v_fmac_f32_e32 v58, 0x3e9e377a, v38
	v_fmac_f32_e32 v60, 0x3e9e377a, v42
	;; [unrolled: 1-line block ×5, first 2 shown]
	v_fma_f32 v46, 0x3f737871, v51, -v32
	v_fmac_f32_e32 v53, 0x3e9e377a, v63
	v_fma_f32 v50, 0xbf737871, v50, -v34
	v_fmac_f32_e32 v94, 0x3e9e377a, v38
	v_fmac_f32_e32 v47, 0x3e9e377a, v42
	v_fma_f32 v51, 0x3f167918, v56, -v33
	v_fma_f32 v54, 0xbf167918, v44, -v36
	v_add_f32_e32 v32, v58, v40
	v_add_f32_e32 v33, v60, v52
	;; [unrolled: 1-line block ×8, first 2 shown]
	v_sub_f32_e32 v40, v58, v40
	v_sub_f32_e32 v42, v59, v41
	;; [unrolled: 1-line block ×8, first 2 shown]
	ds_write2_b64 v88, v[28:29], v[32:33] offset1:17
	ds_write2_b64 v88, v[34:35], v[36:37] offset0:34 offset1:51
	ds_write2_b64 v88, v[38:39], v[30:31] offset0:68 offset1:85
	;; [unrolled: 1-line block ×4, first 2 shown]
	s_waitcnt lgkmcnt(0)
	s_barrier
	buffer_gl0_inv
	s_clause 0x4
	global_load_dwordx4 v[40:43], v[48:49], off offset:1224
	global_load_dwordx4 v[36:39], v[48:49], off offset:1240
	;; [unrolled: 1-line block ×4, first 2 shown]
	global_load_dwordx2 v[69:70], v[48:49], off offset:1288
	ds_read2_b64 v[44:47], v85 offset1:170
	ds_read2_b64 v[48:51], v71 offset0:84 offset1:254
	ds_read2_b64 v[52:55], v74 offset0:40 offset1:210
	;; [unrolled: 1-line block ×4, first 2 shown]
	s_waitcnt vmcnt(4) lgkmcnt(4)
	v_mul_f32_e32 v75, v47, v41
	v_mul_f32_e32 v76, v46, v41
	s_waitcnt lgkmcnt(3)
	v_mul_f32_e32 v77, v49, v43
	v_mul_f32_e32 v78, v48, v43
	s_waitcnt vmcnt(3)
	v_mul_f32_e32 v79, v51, v37
	v_mul_f32_e32 v80, v50, v37
	s_waitcnt lgkmcnt(2)
	v_mul_f32_e32 v81, v53, v39
	v_mul_f32_e32 v82, v52, v39
	s_waitcnt vmcnt(2)
	;; [unrolled: 6-line block ×4, first 2 shown]
	v_mul_f32_e32 v94, v63, v70
	v_mul_f32_e32 v95, v62, v70
	v_fma_f32 v46, v46, v40, -v75
	v_fmac_f32_e32 v76, v47, v40
	v_fma_f32 v47, v48, v42, -v77
	v_fmac_f32_e32 v78, v49, v42
	;; [unrolled: 2-line block ×9, first 2 shown]
	v_add_f32_e32 v55, v44, v47
	v_add_f32_e32 v56, v49, v51
	v_sub_f32_e32 v57, v78, v93
	v_sub_f32_e32 v59, v47, v49
	;; [unrolled: 1-line block ×3, first 2 shown]
	v_add_f32_e32 v61, v47, v53
	v_add_f32_e32 v75, v45, v78
	;; [unrolled: 1-line block ×3, first 2 shown]
	v_sub_f32_e32 v81, v78, v82
	v_sub_f32_e32 v83, v93, v89
	v_add_f32_e32 v87, v78, v93
	v_sub_f32_e32 v78, v82, v78
	v_sub_f32_e32 v90, v89, v93
	v_add_f32_e32 v92, v46, v48
	v_add_f32_e32 v94, v50, v52
	;; [unrolled: 1-line block ×6, first 2 shown]
	v_sub_f32_e32 v62, v49, v47
	v_sub_f32_e32 v79, v49, v51
	;; [unrolled: 1-line block ×8, first 2 shown]
	v_add_f32_e32 v49, v55, v49
	v_fma_f32 v110, -0.5, v56, v44
	v_add_f32_e32 v55, v59, v60
	v_fma_f32 v56, -0.5, v61, v44
	;; [unrolled: 2-line block ×4, first 2 shown]
	v_add_f32_e32 v45, v78, v90
	v_add_f32_e32 v50, v92, v50
	v_fma_f32 v61, -0.5, v94, v46
	v_fmac_f32_e32 v46, -0.5, v100
	v_add_f32_e32 v78, v103, v84
	v_fma_f32 v81, -0.5, v104, v76
	v_fmac_f32_e32 v76, -0.5, v108
	v_sub_f32_e32 v58, v82, v89
	v_sub_f32_e32 v63, v51, v53
	;; [unrolled: 1-line block ×8, first 2 shown]
	v_add_f32_e32 v49, v49, v51
	v_add_f32_e32 v51, v59, v89
	;; [unrolled: 1-line block ×3, first 2 shown]
	v_fmamk_f32 v52, v96, 0x3f737871, v61
	v_fmac_f32_e32 v61, 0xbf737871, v96
	v_fmamk_f32 v89, v97, 0xbf737871, v46
	v_fmac_f32_e32 v46, 0x3f737871, v97
	v_add_f32_e32 v78, v78, v91
	v_fmamk_f32 v90, v48, 0xbf737871, v81
	v_fmac_f32_e32 v81, 0x3f737871, v48
	v_fmamk_f32 v91, v105, 0x3f737871, v76
	v_fmac_f32_e32 v76, 0xbf737871, v105
	v_sub_f32_e32 v47, v47, v53
	v_add_f32_e32 v44, v62, v63
	v_add_f32_e32 v62, v98, v99
	;; [unrolled: 1-line block ×5, first 2 shown]
	v_fmamk_f32 v84, v58, 0xbf737871, v56
	v_fmac_f32_e32 v56, 0x3f737871, v58
	v_fmamk_f32 v87, v79, 0x3f737871, v77
	v_fmac_f32_e32 v77, 0xbf737871, v79
	v_fmac_f32_e32 v52, 0x3f167918, v97
	;; [unrolled: 1-line block ×9, first 2 shown]
	v_fmamk_f32 v83, v57, 0x3f737871, v110
	v_fmac_f32_e32 v110, 0xbf737871, v57
	v_fmamk_f32 v59, v47, 0xbf737871, v75
	v_fmac_f32_e32 v75, 0x3f737871, v47
	v_add_f32_e32 v49, v49, v53
	v_fmac_f32_e32 v84, 0x3f167918, v57
	v_fmac_f32_e32 v56, 0xbf167918, v57
	v_add_f32_e32 v51, v51, v93
	v_fmac_f32_e32 v87, 0xbf167918, v47
	v_fmac_f32_e32 v77, 0x3f167918, v47
	v_add_f32_e32 v47, v50, v54
	v_add_f32_e32 v53, v78, v95
	v_fmac_f32_e32 v52, 0x3e9e377a, v62
	v_fmac_f32_e32 v61, 0x3e9e377a, v62
	;; [unrolled: 1-line block ×16, first 2 shown]
	v_add_f32_e32 v44, v49, v47
	v_add_f32_e32 v45, v51, v53
	v_sub_f32_e32 v50, v49, v47
	v_sub_f32_e32 v51, v51, v53
	v_mul_f32_e32 v57, 0x3f167918, v90
	v_mul_f32_e32 v58, 0x3f737871, v91
	;; [unrolled: 1-line block ×8, first 2 shown]
	v_fmac_f32_e32 v83, 0x3e9e377a, v55
	v_fmac_f32_e32 v110, 0x3e9e377a, v55
	;; [unrolled: 1-line block ×6, first 2 shown]
	v_fma_f32 v76, 0x3f737871, v76, -v47
	v_fma_f32 v79, 0x3f167918, v81, -v48
	v_fmac_f32_e32 v63, 0x3f4f1bbd, v90
	v_fmac_f32_e32 v78, 0x3e9e377a, v91
	v_fma_f32 v80, 0xbf737871, v46, -v49
	v_fma_f32 v81, 0xbf167918, v61, -v53
	v_add_f32_e32 v46, v83, v57
	v_add_f32_e32 v52, v84, v58
	;; [unrolled: 1-line block ×8, first 2 shown]
	v_sub_f32_e32 v60, v83, v57
	v_sub_f32_e32 v62, v84, v58
	;; [unrolled: 1-line block ×8, first 2 shown]
	ds_write2_b64 v85, v[44:45], v[46:47] offset1:170
	ds_write2_b64 v71, v[52:53], v[54:55] offset0:84 offset1:254
	ds_write2_b64 v74, v[48:49], v[50:51] offset0:40 offset1:210
	;; [unrolled: 1-line block ×4, first 2 shown]
	s_waitcnt lgkmcnt(0)
	s_barrier
	buffer_gl0_inv
	s_and_saveexec_b32 s1, vcc_lo
	s_cbranch_execz .LBB0_9
; %bb.8:
	v_add_co_u32 v87, s0, s12, v85
	v_add_co_ci_u32_e64 v89, null, s13, 0, s0
	v_add_nc_u32_e32 v139, 0x1000, v85
	v_add_co_u32 v73, s0, 0x3000, v87
	v_add_co_ci_u32_e64 v74, s0, 0, v89, s0
	v_add_co_u32 v75, s0, 0x3520, v87
	v_add_co_ci_u32_e64 v76, s0, 0, v89, s0
	v_add_nc_u32_e32 v140, 0x1800, v85
	s_clause 0x1
	global_load_dwordx2 v[77:78], v[73:74], off offset:1312
	global_load_dwordx2 v[79:80], v[75:76], off offset:800
	v_add_co_u32 v73, s0, 0x3800, v87
	v_add_co_ci_u32_e64 v74, s0, 0, v89, s0
	v_add_co_u32 v81, s0, 0x4000, v87
	v_add_co_ci_u32_e64 v82, s0, 0, v89, s0
	;; [unrolled: 2-line block ×3, first 2 shown]
	s_clause 0x1
	global_load_dwordx2 v[105:106], v[73:74], off offset:1664
	global_load_dwordx2 v[107:108], v[75:76], off offset:1600
	v_add_co_u32 v73, s0, 0x5000, v87
	v_add_co_ci_u32_e64 v74, s0, 0, v89, s0
	v_add_co_u32 v75, s0, 0x5800, v87
	v_add_co_ci_u32_e64 v76, s0, 0, v89, s0
	s_clause 0x7
	global_load_dwordx2 v[109:110], v[81:82], off offset:416
	global_load_dwordx2 v[111:112], v[81:82], off offset:1216
	global_load_dwordx2 v[113:114], v[81:82], off offset:2016
	global_load_dwordx2 v[115:116], v[83:84], off offset:768
	global_load_dwordx2 v[117:118], v[83:84], off offset:1568
	global_load_dwordx2 v[119:120], v[73:74], off offset:320
	global_load_dwordx2 v[121:122], v[73:74], off offset:1120
	global_load_dwordx2 v[123:124], v[73:74], off offset:1920
	v_add_co_u32 v73, s0, 0x6000, v87
	v_add_co_ci_u32_e64 v74, s0, 0, v89, s0
	s_clause 0x4
	global_load_dwordx2 v[125:126], v[75:76], off offset:672
	global_load_dwordx2 v[127:128], v[75:76], off offset:1472
	;; [unrolled: 1-line block ×5, first 2 shown]
	ds_read2_b64 v[73:76], v85 offset1:100
	v_add_nc_u32_e32 v87, 0x400, v85
	v_add_nc_u32_e32 v141, 0x1c00, v85
	;; [unrolled: 1-line block ×3, first 2 shown]
	s_waitcnt vmcnt(16) lgkmcnt(0)
	v_mul_f32_e32 v82, v74, v78
	v_mul_f32_e32 v81, v73, v78
	s_waitcnt vmcnt(15)
	v_mul_f32_e32 v83, v76, v80
	v_mul_f32_e32 v78, v75, v80
	v_fma_f32 v80, v73, v77, -v82
	v_fmac_f32_e32 v81, v74, v77
	v_fma_f32 v77, v75, v79, -v83
	v_fmac_f32_e32 v78, v76, v79
	ds_write2_b64 v85, v[80:81], v[77:78] offset1:100
	ds_read2_b64 v[73:76], v87 offset0:72 offset1:172
	ds_read2_b64 v[77:80], v71 offset0:144 offset1:244
	ds_read2_b64 v[81:84], v139 offset0:88 offset1:188
	ds_read2_b64 v[89:92], v140 offset0:32 offset1:132
	ds_read2_b64 v[93:96], v141 offset0:104 offset1:204
	ds_read2_b64 v[97:100], v142 offset0:48 offset1:148
	ds_read2_b64 v[101:104], v72 offset0:120 offset1:220
	ds_read_b64 v[135:136], v85 offset:12800
	s_waitcnt vmcnt(8) lgkmcnt(4)
	v_mul_f32_e32 v148, v90, v118
	v_mul_f32_e32 v137, v74, v108
	;; [unrolled: 1-line block ×14, first 2 shown]
	s_waitcnt vmcnt(7)
	v_mul_f32_e32 v149, v92, v120
	v_mul_f32_e32 v118, v91, v120
	s_waitcnt vmcnt(6) lgkmcnt(3)
	v_mul_f32_e32 v150, v94, v122
	v_mul_f32_e32 v120, v93, v122
	s_waitcnt vmcnt(5)
	v_mul_f32_e32 v151, v96, v124
	v_mul_f32_e32 v122, v95, v124
	s_waitcnt vmcnt(4) lgkmcnt(2)
	v_mul_f32_e32 v152, v98, v126
	v_mul_f32_e32 v124, v97, v126
	;; [unrolled: 6-line block ×4, first 2 shown]
	v_fma_f32 v137, v73, v107, -v137
	v_fmac_f32_e32 v138, v74, v107
	v_fma_f32 v107, v75, v105, -v143
	v_fmac_f32_e32 v108, v76, v105
	;; [unrolled: 2-line block ×15, first 2 shown]
	ds_write2_b64 v87, v[137:138], v[107:108] offset0:72 offset1:172
	ds_write2_b64 v71, v[105:106], v[109:110] offset0:144 offset1:244
	;; [unrolled: 1-line block ×7, first 2 shown]
	ds_write_b64 v85, v[131:132] offset:12800
.LBB0_9:
	s_or_b32 exec_lo, exec_lo, s1
	s_waitcnt lgkmcnt(0)
	s_barrier
	buffer_gl0_inv
	s_and_saveexec_b32 s0, vcc_lo
	s_cbranch_execz .LBB0_11
; %bb.10:
	v_add_nc_u32_e32 v0, 0x400, v85
	v_add_nc_u32_e32 v1, 0x800, v85
	;; [unrolled: 1-line block ×3, first 2 shown]
	ds_read2_b64 v[44:47], v85 offset1:100
	v_add_nc_u32_e32 v3, 0x2400, v85
	ds_read2_b64 v[52:55], v0 offset0:72 offset1:172
	ds_read2_b64 v[48:51], v1 offset0:144 offset1:244
	v_add_nc_u32_e32 v0, 0x1800, v85
	v_add_nc_u32_e32 v1, 0x1c00, v85
	;; [unrolled: 1-line block ×3, first 2 shown]
	ds_read2_b64 v[60:63], v2 offset0:88 offset1:188
	ds_read2_b64 v[56:59], v0 offset0:32 offset1:132
	;; [unrolled: 1-line block ×5, first 2 shown]
	ds_read_b64 v[65:66], v85 offset:12800
.LBB0_11:
	s_or_b32 exec_lo, exec_lo, s0
	s_waitcnt lgkmcnt(0)
	s_barrier
	buffer_gl0_inv
	s_and_saveexec_b32 s0, vcc_lo
	s_cbranch_execz .LBB0_13
; %bb.12:
	v_add_f32_e32 v84, v66, v47
	v_sub_f32_e32 v94, v46, v65
	v_add_f32_e32 v208, v3, v53
	v_sub_f32_e32 v90, v52, v2
	v_add_f32_e32 v206, v1, v55
	v_mul_f32_e32 v108, 0xbf7ba420, v84
	v_sub_f32_e32 v91, v54, v0
	v_mul_f32_e32 v110, 0x3f6eb680, v208
	v_add_f32_e32 v201, v7, v49
	v_mul_f32_e32 v111, 0xbf59a7d5, v206
	v_fmamk_f32 v71, v94, 0x3e3c28d5, v108
	v_sub_f32_e32 v89, v48, v6
	v_fmamk_f32 v72, v90, 0xbeb8f4ab, v110
	v_add_f32_e32 v202, v5, v51
	v_mul_f32_e32 v112, 0x3f3d2fb0, v201
	v_add_f32_e32 v71, v45, v71
	v_fmamk_f32 v73, v91, 0x3f06c442, v111
	v_sub_f32_e32 v168, v47, v66
	v_sub_f32_e32 v92, v50, v4
	v_add_f32_e32 v83, v11, v61
	v_add_f32_e32 v71, v72, v71
	;; [unrolled: 1-line block ×3, first 2 shown]
	v_mul_f32_e32 v117, 0xbf1a4643, v202
	v_fmamk_f32 v72, v89, 0xbf2c7751, v112
	v_sub_f32_e32 v169, v53, v3
	v_add_f32_e32 v71, v73, v71
	v_mul_f32_e32 v116, 0xbe3c28d5, v168
	v_sub_f32_e32 v93, v60, v10
	v_mul_f32_e32 v114, 0x3ee437d1, v83
	v_fmamk_f32 v73, v92, 0x3f4c4adb, v117
	v_add_f32_e32 v71, v72, v71
	v_add_f32_e32 v97, v2, v52
	v_mul_f32_e32 v115, 0x3eb8f4ab, v169
	v_fmamk_f32 v74, v96, 0xbf7ba420, v116
	v_sub_f32_e32 v181, v55, v1
	v_fmamk_f32 v72, v93, 0xbf65296c, v114
	v_add_f32_e32 v71, v73, v71
	v_fmamk_f32 v73, v97, 0x3f6eb680, v115
	v_add_f32_e32 v74, v44, v74
	v_add_f32_e32 v99, v0, v54
	v_mul_f32_e32 v109, 0xbf06c442, v181
	v_sub_f32_e32 v188, v49, v7
	v_add_f32_e32 v191, v9, v63
	v_add_f32_e32 v71, v72, v71
	;; [unrolled: 1-line block ×3, first 2 shown]
	v_fmamk_f32 v73, v99, 0xbf59a7d5, v109
	v_add_f32_e32 v100, v6, v48
	v_mul_f32_e32 v105, 0x3f2c7751, v188
	v_sub_f32_e32 v189, v51, v5
	v_mul_f32_e32 v113, 0xbe8c1d8e, v191
	v_sub_f32_e32 v95, v62, v8
	v_add_f32_e32 v194, v59, v57
	v_add_f32_e32 v72, v73, v72
	v_fmamk_f32 v73, v100, 0x3f3d2fb0, v105
	v_add_f32_e32 v101, v4, v50
	v_mul_f32_e32 v106, 0xbf4c4adb, v189
	v_sub_f32_e32 v185, v61, v11
	v_fmamk_f32 v74, v95, 0x3f763a35, v113
	v_mul_f32_e32 v120, 0x3dbcf732, v194
	v_sub_f32_e32 v98, v56, v58
	v_add_f32_e32 v72, v73, v72
	v_fmamk_f32 v73, v101, 0xbf1a4643, v106
	v_add_f32_e32 v102, v10, v60
	v_mul_f32_e32 v107, 0x3f65296c, v185
	v_mul_f32_e32 v135, 0xbf59a7d5, v84
	v_add_f32_e32 v71, v74, v71
	v_fmamk_f32 v74, v98, 0xbf7ee86f, v120
	v_add_f32_e32 v73, v73, v72
	v_fmamk_f32 v75, v102, 0x3ee437d1, v107
	v_fmamk_f32 v76, v94, 0x3f06c442, v135
	v_mul_f32_e32 v121, 0x3ee437d1, v208
	v_add_f32_e32 v72, v74, v71
	v_sub_f32_e32 v192, v63, v9
	v_add_f32_e32 v71, v75, v73
	v_add_f32_e32 v73, v45, v76
	v_fmamk_f32 v74, v90, 0xbf65296c, v121
	v_mul_f32_e32 v122, 0x3dbcf732, v206
	v_add_f32_e32 v104, v8, v62
	v_mul_f32_e32 v118, 0xbf763a35, v192
	v_sub_f32_e32 v193, v57, v59
	v_add_f32_e32 v73, v74, v73
	v_fmamk_f32 v74, v91, 0x3f7ee86f, v122
	v_mul_f32_e32 v126, 0xbf1a4643, v201
	v_fmamk_f32 v75, v104, 0xbe8c1d8e, v118
	v_add_f32_e32 v103, v58, v56
	v_mul_f32_e32 v119, 0x3f7ee86f, v193
	v_add_f32_e32 v73, v74, v73
	v_fmamk_f32 v74, v89, 0xbf4c4adb, v126
	v_mul_f32_e32 v127, 0x3f6eb680, v202
	v_add_f32_e32 v71, v75, v71
	v_fmamk_f32 v75, v103, 0x3dbcf732, v119
	;; [unrolled: 3-line block ×85, first 2 shown]
	v_mul_f32_e32 v217, 0x3ee437d1, v191
	v_add_f32_e32 v47, v47, v45
	v_add_f32_e32 v87, v44, v87
	v_fmamk_f32 v210, v97, 0x3dbcf732, v231
	v_mul_f32_e32 v196, 0xbf4c4adb, v181
	v_add_f32_e32 v219, v197, v146
	v_fmamk_f32 v221, v95, 0xbf65296c, v217
	v_mul_f32_e32 v146, 0x3f6eb680, v194
	v_add_f32_e32 v47, v53, v47
	v_add_f32_e32 v46, v46, v44
	v_add_f32_e32 v87, v210, v87
	v_fmamk_f32 v210, v99, 0xbf1a4643, v196
	v_mul_f32_e32 v197, 0xbe3c28d5, v188
	v_add_f32_e32 v221, v221, v219
	v_fmamk_f32 v222, v98, 0xbeb8f4ab, v146
	v_mul_f32_e32 v219, 0x3f6eb680, v84
	v_add_f32_e32 v47, v55, v47
	v_add_f32_e32 v46, v52, v46
	v_add_f32_e32 v87, v210, v87
	v_fmamk_f32 v223, v100, 0xbf7ba420, v197
	v_mul_f32_e32 v210, 0x3f06c442, v189
	v_add_f32_e32 v84, v222, v221
	v_fmamk_f32 v222, v94, 0x3eb8f4ab, v219
	v_mul_f32_e32 v221, 0x3f3d2fb0, v208
	v_add_f32_e32 v47, v49, v47
	v_add_f32_e32 v46, v54, v46
	v_add_f32_e32 v87, v223, v87
	v_fmamk_f32 v223, v101, 0xbf59a7d5, v210
	v_mul_f32_e32 v208, 0x3f763a35, v185
	v_add_f32_e32 v232, v45, v222
	v_fmamk_f32 v233, v90, 0x3f2c7751, v221
	v_mul_f32_e32 v222, 0x3ee437d1, v206
	v_add_f32_e32 v47, v51, v47
	v_add_f32_e32 v46, v48, v46
	v_add_f32_e32 v87, v223, v87
	v_fmamk_f32 v234, v102, 0xbe8c1d8e, v208
	v_mul_f32_e32 v206, 0x3f65296c, v192
	v_add_f32_e32 v232, v233, v232
	v_fmamk_f32 v233, v91, 0x3f65296c, v222
	v_mul_f32_e32 v223, 0x3dbcf732, v201
	v_add_f32_e32 v47, v61, v47
	v_add_f32_e32 v46, v50, v46
	v_add_f32_e32 v87, v234, v87
	v_fmamk_f32 v234, v104, 0x3ee437d1, v206
	v_mul_f32_e32 v201, 0x3eb8f4ab, v193
	v_add_f32_e32 v232, v233, v232
	v_fmamk_f32 v233, v89, 0x3f7ee86f, v223
	v_mul_f32_e32 v202, 0xbe8c1d8e, v202
	v_add_f32_e32 v47, v63, v47
	v_add_f32_e32 v46, v60, v46
	v_add_f32_e32 v87, v234, v87
	v_fmamk_f32 v234, v103, 0x3f6eb680, v201
	v_add_f32_e32 v232, v233, v232
	v_fmamk_f32 v233, v92, 0x3f763a35, v202
	v_mul_f32_e32 v53, 0xbf1a4643, v83
	v_add_f32_e32 v47, v57, v47
	v_add_f32_e32 v46, v62, v46
	;; [unrolled: 1-line block ×4, first 2 shown]
	v_fmamk_f32 v55, v93, 0x3f4c4adb, v53
	v_mul_f32_e32 v52, 0xbf59a7d5, v191
	v_mul_f32_e32 v168, 0xbeb8f4ab, v168
	v_add_f32_e32 v59, v59, v47
	v_add_f32_e32 v46, v56, v46
	;; [unrolled: 1-line block ×3, first 2 shown]
	v_fmamk_f32 v54, v95, 0x3f06c442, v52
	v_fmamk_f32 v55, v96, 0x3f6eb680, v168
	v_mul_f32_e32 v51, 0xbf2c7751, v169
	v_add_f32_e32 v9, v9, v59
	v_add_f32_e32 v46, v58, v46
	v_fmac_f32_e32 v108, 0xbe3c28d5, v94
	v_add_f32_e32 v49, v54, v49
	v_add_f32_e32 v54, v44, v55
	v_fmamk_f32 v50, v97, 0x3f3d2fb0, v51
	v_mul_f32_e32 v55, 0xbf65296c, v181
	v_add_f32_e32 v9, v11, v9
	v_add_f32_e32 v8, v8, v46
	;; [unrolled: 1-line block ×3, first 2 shown]
	v_fmac_f32_e32 v110, 0x3eb8f4ab, v90
	v_mul_f32_e32 v48, 0xbf7ba420, v194
	v_add_f32_e32 v50, v50, v54
	v_fmamk_f32 v54, v99, 0x3ee437d1, v55
	v_mul_f32_e32 v60, 0xbf7ee86f, v188
	v_add_f32_e32 v5, v5, v9
	v_add_f32_e32 v8, v10, v8
	;; [unrolled: 1-line block ×3, first 2 shown]
	v_fmac_f32_e32 v111, 0xbf06c442, v91
	v_fmamk_f32 v57, v98, 0x3e3c28d5, v48
	v_add_f32_e32 v50, v54, v50
	v_fmamk_f32 v54, v100, 0x3dbcf732, v60
	v_mul_f32_e32 v56, 0xbf763a35, v189
	v_add_f32_e32 v5, v7, v5
	v_add_f32_e32 v4, v4, v8
	;; [unrolled: 1-line block ×3, first 2 shown]
	v_fmac_f32_e32 v112, 0x3f2c7751, v89
	v_add_f32_e32 v47, v57, v49
	v_add_f32_e32 v49, v54, v50
	v_fmamk_f32 v50, v101, 0xbe8c1d8e, v56
	v_mul_f32_e32 v54, 0xbf4c4adb, v185
	v_add_f32_e32 v1, v1, v5
	v_add_f32_e32 v4, v6, v4
	;; [unrolled: 1-line block ×3, first 2 shown]
	v_fmac_f32_e32 v117, 0xbf4c4adb, v92
	v_add_f32_e32 v46, v50, v49
	v_fmamk_f32 v49, v102, 0xbf1a4643, v54
	v_mul_f32_e32 v57, 0xbf06c442, v192
	v_add_f32_e32 v1, v3, v1
	v_add_f32_e32 v0, v0, v4
	;; [unrolled: 1-line block ×3, first 2 shown]
	v_fmac_f32_e32 v114, 0x3f65296c, v93
	v_add_f32_e32 v10, v49, v46
	v_fmamk_f32 v8, v104, 0xbf59a7d5, v57
	v_mul_f32_e32 v58, 0xbe3c28d5, v193
	v_fma_f32 v4, 0xbf7ba420, v96, -v116
	v_add_f32_e32 v0, v2, v0
	v_add_f32_e32 v2, v114, v3
	v_fmac_f32_e32 v113, 0xbf763a35, v95
	v_add_f32_e32 v6, v8, v10
	v_fmamk_f32 v7, v103, 0xbf7ba420, v58
	v_add_f32_e32 v3, v44, v4
	v_fma_f32 v4, 0x3f6eb680, v97, -v115
	v_fmac_f32_e32 v135, 0xbf06c442, v94
	v_add_f32_e32 v2, v113, v2
	v_fmac_f32_e32 v120, 0x3f7ee86f, v98
	v_add_f32_e32 v46, v7, v6
	v_add_f32_e32 v4, v4, v3
	v_fma_f32 v5, 0xbf59a7d5, v99, -v109
	v_add_f32_e32 v6, v45, v135
	v_fmac_f32_e32 v121, 0x3f65296c, v90
	v_add_f32_e32 v3, v120, v2
	v_fma_f32 v2, 0xbf59a7d5, v96, -v139
	v_add_f32_e32 v4, v5, v4
	v_fma_f32 v5, 0x3f3d2fb0, v100, -v105
	v_add_f32_e32 v6, v121, v6
	v_fmac_f32_e32 v122, 0xbf7ee86f, v91
	v_add_f32_e32 v2, v44, v2
	v_fma_f32 v7, 0x3ee437d1, v97, -v140
	;; [unrolled: 6-line block ×6, first 2 shown]
	v_fmac_f32_e32 v137, 0xbf4c4adb, v94
	v_add_f32_e32 v2, v5, v4
	v_add_f32_e32 v4, v128, v6
	v_fmac_f32_e32 v129, 0xbf763a35, v98
	v_add_f32_e32 v6, v8, v7
	v_fma_f32 v7, 0x3f3d2fb0, v104, -v149
	v_add_f32_e32 v8, v45, v137
	v_fmac_f32_e32 v134, 0x3f763a35, v90
	v_add_f32_e32 v5, v129, v4
	v_fma_f32 v4, 0xbf1a4643, v96, -v151
	v_add_f32_e32 v6, v7, v6
	v_fma_f32 v7, 0xbe8c1d8e, v103, -v136
	v_add_f32_e32 v8, v134, v8
	v_fmac_f32_e32 v123, 0xbeb8f4ab, v91
	v_add_f32_e32 v9, v44, v4
	v_fma_f32 v10, 0xbe8c1d8e, v97, -v153
	v_add_f32_e32 v4, v7, v6
	v_fmac_f32_e32 v171, 0xbf763a35, v94
	v_add_f32_e32 v6, v123, v8
	v_fmac_f32_e32 v124, 0xbf06c442, v89
	v_add_f32_e32 v7, v10, v9
	v_fma_f32 v8, 0x3f6eb680, v99, -v142
	v_add_f32_e32 v9, v45, v171
	v_fmac_f32_e32 v172, 0x3f06c442, v90
	;; [unrolled: 6-line block ×6, first 2 shown]
	v_add_f32_e32 v7, v132, v6
	v_fma_f32 v6, 0xbe8c1d8e, v96, -v176
	v_add_f32_e32 v8, v10, v8
	v_fma_f32 v10, 0x3ee437d1, v103, -v145
	v_add_f32_e32 v9, v177, v9
	v_fmac_f32_e32 v157, 0xbeb8f4ab, v95
	v_add_f32_e32 v11, v44, v6
	v_fma_f32 v49, 0xbf59a7d5, v97, -v178
	v_fmac_f32_e32 v190, 0xbf7ee86f, v94
	v_add_f32_e32 v6, v10, v8
	v_add_f32_e32 v8, v157, v9
	v_fmac_f32_e32 v158, 0xbf4c4adb, v98
	v_add_f32_e32 v10, v49, v11
	v_fma_f32 v11, 0x3f3d2fb0, v99, -v159
	v_add_f32_e32 v49, v45, v190
	v_fmac_f32_e32 v162, 0xbe3c28d5, v90
	v_add_f32_e32 v9, v158, v8
	v_fma_f32 v8, 0x3dbcf732, v96, -v199
	v_add_f32_e32 v10, v11, v10
	v_fma_f32 v11, 0x3ee437d1, v100, -v138
	v_add_f32_e32 v49, v162, v49
	v_fmac_f32_e32 v163, 0x3f763a35, v91
	v_add_f32_e32 v8, v44, v8
	v_fma_f32 v50, 0xbf7ba420, v97, -v200
	;; [unrolled: 6-line block ×6, first 2 shown]
	v_add_f32_e32 v8, v11, v10
	v_fmac_f32_e32 v198, 0xbf65296c, v94
	v_add_f32_e32 v10, v179, v49
	v_fmac_f32_e32 v180, 0x3f2c7751, v98
	v_add_f32_e32 v49, v59, v50
	v_fma_f32 v50, 0xbf1a4643, v104, -v211
	v_add_f32_e32 v59, v45, v198
	v_fmac_f32_e32 v187, 0xbf4c4adb, v90
	v_add_f32_e32 v11, v180, v10
	v_fma_f32 v10, 0x3ee437d1, v96, -v212
	v_add_f32_e32 v49, v50, v49
	v_fma_f32 v50, 0x3f3d2fb0, v103, -v195
	v_add_f32_e32 v59, v187, v59
	v_fmac_f32_e32 v164, 0x3e3c28d5, v91
	v_add_f32_e32 v61, v44, v10
	v_fma_f32 v62, 0xbf1a4643, v97, -v213
	v_fmac_f32_e32 v224, 0xbf2c7751, v94
	v_add_f32_e32 v10, v50, v49
	v_add_f32_e32 v49, v164, v59
	v_fmac_f32_e32 v165, 0x3f763a35, v89
	v_add_f32_e32 v50, v62, v61
	v_fma_f32 v59, 0xbf7ba420, v99, -v204
	v_add_f32_e32 v61, v45, v224
	v_fmac_f32_e32 v225, 0xbf7ee86f, v90
	v_add_f32_e32 v49, v165, v49
	v_fmac_f32_e32 v166, 0x3f2c7751, v92
	v_add_f32_e32 v50, v59, v50
	v_fma_f32 v59, 0xbe8c1d8e, v100, -v205
	v_add_f32_e32 v61, v225, v61
	v_fmac_f32_e32 v226, 0xbf4c4adb, v91
	;; [unrolled: 6-line block ×5, first 2 shown]
	v_add_f32_e32 v50, v184, v49
	v_fma_f32 v49, 0x3f3d2fb0, v96, -v229
	v_add_f32_e32 v59, v62, v59
	v_fma_f32 v62, 0xbf59a7d5, v103, -v209
	v_add_f32_e32 v61, v230, v61
	v_fmac_f32_e32 v217, 0x3f65296c, v95
	v_add_f32_e32 v0, v65, v0
	v_add_f32_e32 v63, v44, v49
	v_fma_f32 v65, 0x3dbcf732, v97, -v231
	v_add_f32_e32 v49, v62, v59
	v_fmac_f32_e32 v219, 0xbeb8f4ab, v94
	v_add_f32_e32 v59, v217, v61
	v_fma_f32 v61, 0x3f6eb680, v96, -v168
	v_add_f32_e32 v62, v65, v63
	v_fma_f32 v63, 0xbf1a4643, v99, -v196
	v_add_f32_e32 v45, v45, v219
	v_fmac_f32_e32 v221, 0xbf2c7751, v90
	v_add_f32_e32 v44, v44, v61
	v_fma_f32 v51, 0x3f3d2fb0, v97, -v51
	v_add_f32_e32 v61, v63, v62
	v_fma_f32 v62, 0xbf7ba420, v100, -v197
	v_add_f32_e32 v45, v221, v45
	v_fmac_f32_e32 v222, 0xbf65296c, v91
	v_add_f32_e32 v44, v51, v44
	v_fma_f32 v51, 0x3ee437d1, v99, -v55
	v_add_f32_e32 v55, v62, v61
	v_fma_f32 v61, 0xbf59a7d5, v101, -v210
	v_add_f32_e32 v45, v222, v45
	v_fmac_f32_e32 v223, 0xbf7ee86f, v89
	v_add_f32_e32 v44, v51, v44
	v_fma_f32 v51, 0x3dbcf732, v100, -v60
	v_add_f32_e32 v55, v61, v55
	v_fma_f32 v60, 0xbe8c1d8e, v102, -v208
	v_add_f32_e32 v45, v223, v45
	v_fmac_f32_e32 v202, 0xbf763a35, v92
	v_add_f32_e32 v44, v51, v44
	v_fma_f32 v51, 0xbe8c1d8e, v101, -v56
	v_add_f32_e32 v55, v60, v55
	v_fma_f32 v56, 0x3ee437d1, v104, -v206
	v_add_f32_e32 v45, v202, v45
	v_fmac_f32_e32 v53, 0xbf4c4adb, v93
	v_add_f32_e32 v44, v51, v44
	v_fma_f32 v51, 0xbf1a4643, v102, -v54
	v_add_f32_e32 v54, v56, v55
	v_fmac_f32_e32 v52, 0xbf06c442, v95
	v_add_f32_e32 v45, v53, v45
	v_mov_b32_e32 v55, 3
	v_add_f32_e32 v44, v51, v44
	v_fma_f32 v51, 0xbf59a7d5, v104, -v57
	v_add_f32_e32 v1, v66, v1
	v_fmac_f32_e32 v146, 0x3eb8f4ab, v98
	v_fma_f32 v53, 0x3f6eb680, v103, -v201
	v_add_f32_e32 v52, v52, v45
	v_fmac_f32_e32 v48, 0xbe3c28d5, v98
	v_add_f32_e32 v51, v51, v44
	v_fma_f32 v56, 0xbf7ba420, v103, -v58
	v_lshlrev_b32_sdwa v55, v55, v235 dst_sel:DWORD dst_unused:UNUSED_PAD src0_sel:DWORD src1_sel:WORD_0
	v_add_f32_e32 v45, v146, v59
	v_add_f32_e32 v44, v53, v54
	;; [unrolled: 1-line block ×4, first 2 shown]
	ds_write2_b64 v55, v[0:1], v[46:47] offset1:1
	ds_write2_b64 v55, v[83:84], v[81:82] offset0:2 offset1:3
	ds_write2_b64 v55, v[79:80], v[77:78] offset0:4 offset1:5
	;; [unrolled: 1-line block ×7, first 2 shown]
	ds_write_b64 v55, v[51:52] offset:128
.LBB0_13:
	s_or_b32 exec_lo, exec_lo, s0
	s_waitcnt lgkmcnt(0)
	s_barrier
	buffer_gl0_inv
	ds_read2_b64 v[4:7], v85 offset1:170
	v_add_nc_u32_e32 v2, 0x800, v85
	v_add_nc_u32_e32 v1, 0x1400, v85
	v_add_nc_u32_e32 v3, 0x1e00, v85
	v_add_nc_u32_e32 v0, 0x2800, v85
	ds_read2_b64 v[8:11], v2 offset0:84 offset1:254
	ds_read2_b64 v[44:47], v1 offset0:40 offset1:210
	;; [unrolled: 1-line block ×4, first 2 shown]
	s_waitcnt lgkmcnt(0)
	s_barrier
	buffer_gl0_inv
	v_mul_f32_e32 v56, v25, v7
	v_mul_f32_e32 v25, v25, v6
	v_fmac_f32_e32 v56, v24, v6
	v_mul_f32_e32 v6, v27, v9
	v_fma_f32 v7, v24, v7, -v25
	v_mul_f32_e32 v24, v27, v8
	v_mul_f32_e32 v25, v21, v11
	;; [unrolled: 1-line block ×7, first 2 shown]
	v_fmac_f32_e32 v6, v26, v8
	v_fma_f32 v8, v26, v9, -v24
	v_fma_f32 v9, v20, v11, -v21
	v_fmac_f32_e32 v27, v22, v44
	v_fmac_f32_e32 v57, v16, v46
	v_mul_f32_e32 v11, v19, v48
	v_mul_f32_e32 v19, v13, v51
	v_fma_f32 v16, v16, v47, -v17
	v_fmac_f32_e32 v58, v18, v48
	v_mul_f32_e32 v17, v15, v52
	v_mul_f32_e32 v13, v13, v50
	;; [unrolled: 1-line block ×3, first 2 shown]
	v_add_f32_e32 v21, v4, v6
	v_mul_f32_e32 v23, v23, v44
	v_fma_f32 v11, v18, v49, -v11
	v_fmac_f32_e32 v19, v12, v50
	v_add_f32_e32 v18, v27, v58
	v_fma_f32 v17, v14, v53, -v17
	v_fma_f32 v12, v12, v51, -v13
	v_fmac_f32_e32 v15, v14, v52
	v_add_f32_e32 v13, v21, v27
	v_fmac_f32_e32 v25, v20, v10
	v_fma_f32 v10, v22, v45, -v23
	v_fma_f32 v22, -0.5, v18, v4
	v_sub_f32_e32 v18, v8, v17
	v_sub_f32_e32 v23, v6, v27
	;; [unrolled: 1-line block ×3, first 2 shown]
	v_add_f32_e32 v26, v6, v15
	v_add_f32_e32 v13, v13, v58
	v_fmamk_f32 v21, v18, 0xbf737871, v22
	v_sub_f32_e32 v14, v10, v11
	v_mul_f32_e32 v44, v68, v54
	v_add_f32_e32 v23, v23, v24
	v_fma_f32 v24, -0.5, v26, v4
	v_add_f32_e32 v26, v13, v15
	v_fmac_f32_e32 v22, 0x3f737871, v18
	v_sub_f32_e32 v13, v27, v6
	v_sub_f32_e32 v45, v58, v15
	v_add_f32_e32 v46, v5, v8
	v_add_f32_e32 v47, v10, v11
	v_fmac_f32_e32 v21, 0xbf167918, v14
	v_fma_f32 v4, v67, v55, -v44
	v_fmamk_f32 v44, v14, 0x3f737871, v24
	v_fmac_f32_e32 v22, 0x3f167918, v14
	v_add_f32_e32 v13, v13, v45
	v_fmac_f32_e32 v24, 0xbf737871, v14
	v_add_f32_e32 v14, v46, v10
	v_fma_f32 v45, -0.5, v47, v5
	v_sub_f32_e32 v6, v6, v15
	v_add_f32_e32 v15, v8, v17
	v_mul_f32_e32 v20, v68, v55
	v_fmac_f32_e32 v21, 0x3e9e377a, v23
	v_fmac_f32_e32 v44, 0xbf167918, v18
	;; [unrolled: 1-line block ×4, first 2 shown]
	v_add_f32_e32 v14, v14, v11
	v_fmamk_f32 v23, v6, 0x3f737871, v45
	v_sub_f32_e32 v18, v27, v58
	v_sub_f32_e32 v27, v8, v10
	;; [unrolled: 1-line block ×3, first 2 shown]
	v_fma_f32 v47, -0.5, v15, v5
	v_fmac_f32_e32 v45, 0xbf737871, v6
	v_sub_f32_e32 v8, v10, v8
	v_sub_f32_e32 v10, v11, v17
	v_add_f32_e32 v11, v56, v25
	v_fmac_f32_e32 v20, v67, v54
	v_fmac_f32_e32 v23, 0x3f167918, v18
	v_add_f32_e32 v5, v27, v46
	v_fmamk_f32 v27, v18, 0xbf737871, v47
	v_fmac_f32_e32 v45, 0xbf167918, v18
	v_add_f32_e32 v8, v8, v10
	v_fmac_f32_e32 v47, 0x3f737871, v18
	v_add_f32_e32 v10, v11, v57
	v_add_f32_e32 v11, v57, v19
	v_fmac_f32_e32 v23, 0x3e9e377a, v5
	v_fmac_f32_e32 v27, 0x3f167918, v6
	;; [unrolled: 1-line block ×4, first 2 shown]
	v_add_f32_e32 v5, v10, v19
	v_fma_f32 v11, -0.5, v11, v56
	v_add_f32_e32 v6, v25, v20
	v_sub_f32_e32 v10, v9, v4
	v_fmac_f32_e32 v44, 0x3e9e377a, v13
	v_fmac_f32_e32 v24, 0x3e9e377a, v13
	v_add_f32_e32 v15, v14, v17
	v_fmac_f32_e32 v27, 0x3e9e377a, v8
	v_fmac_f32_e32 v47, 0x3e9e377a, v8
	v_add_f32_e32 v14, v5, v20
	v_sub_f32_e32 v5, v16, v12
	v_fmac_f32_e32 v56, -0.5, v6
	v_fmamk_f32 v13, v10, 0xbf737871, v11
	v_sub_f32_e32 v6, v25, v57
	v_sub_f32_e32 v8, v20, v19
	v_fmac_f32_e32 v11, 0x3f737871, v10
	v_fmamk_f32 v17, v5, 0x3f737871, v56
	v_fmac_f32_e32 v13, 0xbf167918, v5
	v_sub_f32_e32 v18, v57, v25
	v_add_f32_e32 v6, v6, v8
	v_fmac_f32_e32 v11, 0x3f167918, v5
	v_sub_f32_e32 v46, v19, v20
	v_fmac_f32_e32 v56, 0xbf737871, v5
	v_add_f32_e32 v5, v16, v12
	v_fmac_f32_e32 v13, 0x3e9e377a, v6
	v_fmac_f32_e32 v11, 0x3e9e377a, v6
	v_add_f32_e32 v6, v9, v4
	v_fmac_f32_e32 v17, 0xbf167918, v10
	v_add_f32_e32 v8, v18, v46
	v_fmac_f32_e32 v56, 0x3f167918, v10
	v_fma_f32 v5, -0.5, v5, v7
	v_sub_f32_e32 v10, v25, v20
	v_add_f32_e32 v18, v7, v9
	v_sub_f32_e32 v19, v57, v19
	v_fmac_f32_e32 v7, -0.5, v6
	v_fmac_f32_e32 v17, 0x3e9e377a, v8
	v_fmac_f32_e32 v56, 0x3e9e377a, v8
	v_fmamk_f32 v20, v10, 0x3f737871, v5
	v_sub_f32_e32 v6, v9, v16
	v_sub_f32_e32 v8, v4, v12
	v_fmamk_f32 v25, v19, 0xbf737871, v7
	v_sub_f32_e32 v9, v16, v9
	v_sub_f32_e32 v46, v12, v4
	v_fmac_f32_e32 v7, 0x3f737871, v19
	v_fmac_f32_e32 v5, 0xbf737871, v10
	;; [unrolled: 1-line block ×3, first 2 shown]
	v_add_f32_e32 v6, v6, v8
	v_fmac_f32_e32 v25, 0x3f167918, v10
	v_add_f32_e32 v8, v9, v46
	v_fmac_f32_e32 v7, 0xbf167918, v10
	v_fmac_f32_e32 v5, 0xbf167918, v19
	v_add_f32_e32 v9, v18, v16
	v_fmac_f32_e32 v20, 0x3e9e377a, v6
	v_fmac_f32_e32 v25, 0x3e9e377a, v8
	;; [unrolled: 1-line block ×4, first 2 shown]
	v_add_f32_e32 v8, v9, v12
	v_mul_f32_e32 v16, 0xbf167918, v20
	v_mul_f32_e32 v49, 0x3f4f1bbd, v20
	;; [unrolled: 1-line block ×8, first 2 shown]
	v_add_f32_e32 v46, v8, v4
	v_fmac_f32_e32 v16, 0x3f4f1bbd, v13
	v_fmac_f32_e32 v49, 0x3f167918, v13
	;; [unrolled: 1-line block ×8, first 2 shown]
	v_add_f32_e32 v4, v26, v14
	v_add_f32_e32 v6, v21, v16
	;; [unrolled: 1-line block ×10, first 2 shown]
	v_sub_f32_e32 v14, v26, v14
	v_sub_f32_e32 v15, v15, v46
	v_sub_f32_e32 v16, v21, v16
	v_sub_f32_e32 v18, v44, v18
	v_sub_f32_e32 v20, v24, v19
	v_sub_f32_e32 v17, v23, v49
	v_sub_f32_e32 v19, v27, v25
	v_sub_f32_e32 v22, v22, v48
	v_sub_f32_e32 v21, v47, v50
	v_sub_f32_e32 v23, v45, v51
	ds_write2_b64 v88, v[4:5], v[6:7] offset1:17
	ds_write2_b64 v88, v[8:9], v[10:11] offset0:34 offset1:51
	ds_write2_b64 v88, v[12:13], v[14:15] offset0:68 offset1:85
	;; [unrolled: 1-line block ×4, first 2 shown]
	s_waitcnt lgkmcnt(0)
	s_barrier
	buffer_gl0_inv
	ds_read2_b64 v[4:7], v85 offset1:170
	ds_read2_b64 v[8:11], v2 offset0:84 offset1:254
	ds_read2_b64 v[12:15], v1 offset0:40 offset1:210
	;; [unrolled: 1-line block ×4, first 2 shown]
	s_waitcnt lgkmcnt(4)
	v_mul_f32_e32 v24, v41, v7
	v_mul_f32_e32 v25, v41, v6
	s_waitcnt lgkmcnt(3)
	v_mul_f32_e32 v26, v43, v9
	s_waitcnt lgkmcnt(2)
	v_mul_f32_e32 v27, v39, v12
	v_fmac_f32_e32 v24, v40, v6
	v_mul_f32_e32 v6, v43, v8
	v_fma_f32 v7, v40, v7, -v25
	v_fmac_f32_e32 v26, v42, v8
	v_mul_f32_e32 v8, v37, v11
	v_mul_f32_e32 v25, v37, v10
	v_fma_f32 v6, v42, v9, -v6
	v_mul_f32_e32 v9, v39, v13
	v_fmac_f32_e32 v8, v36, v10
	v_fma_f32 v10, v36, v11, -v25
	v_mul_f32_e32 v11, v33, v15
	v_fmac_f32_e32 v9, v38, v12
	v_fma_f32 v12, v38, v13, -v27
	v_mul_f32_e32 v13, v33, v14
	s_waitcnt lgkmcnt(1)
	v_mul_f32_e32 v25, v35, v17
	v_mul_f32_e32 v27, v29, v19
	v_fmac_f32_e32 v11, v32, v14
	v_mul_f32_e32 v14, v35, v16
	v_fma_f32 v13, v32, v15, -v13
	v_fmac_f32_e32 v25, v34, v16
	s_waitcnt lgkmcnt(0)
	v_mul_f32_e32 v15, v31, v20
	v_fmac_f32_e32 v27, v28, v18
	v_mul_f32_e32 v16, v29, v18
	v_mul_f32_e32 v18, v31, v21
	v_fma_f32 v14, v34, v17, -v14
	v_add_f32_e32 v17, v9, v25
	v_fma_f32 v15, v30, v21, -v15
	v_add_f32_e32 v29, v4, v26
	v_fmac_f32_e32 v18, v30, v20
	v_mul_f32_e32 v21, v70, v23
	v_fma_f32 v17, -0.5, v17, v4
	v_sub_f32_e32 v31, v6, v15
	v_fma_f32 v16, v28, v19, -v16
	v_add_f32_e32 v19, v29, v9
	v_sub_f32_e32 v29, v26, v9
	v_sub_f32_e32 v30, v18, v25
	v_add_f32_e32 v32, v26, v18
	v_fmac_f32_e32 v21, v69, v22
	v_fmamk_f32 v20, v31, 0xbf737871, v17
	v_sub_f32_e32 v28, v12, v14
	v_mul_f32_e32 v22, v70, v22
	v_add_f32_e32 v29, v29, v30
	v_fma_f32 v30, -0.5, v32, v4
	v_fmac_f32_e32 v17, 0x3f737871, v31
	v_add_f32_e32 v19, v19, v25
	v_fmac_f32_e32 v20, 0xbf167918, v28
	v_fma_f32 v4, v69, v23, -v22
	v_fmamk_f32 v22, v28, 0x3f737871, v30
	v_sub_f32_e32 v23, v9, v26
	v_sub_f32_e32 v32, v25, v18
	v_fmac_f32_e32 v17, 0x3f167918, v28
	v_add_f32_e32 v33, v5, v6
	v_add_f32_e32 v34, v12, v14
	v_fmac_f32_e32 v30, 0xbf737871, v28
	v_add_f32_e32 v19, v19, v18
	v_fmac_f32_e32 v20, 0x3e9e377a, v29
	v_fmac_f32_e32 v22, 0xbf167918, v31
	v_add_f32_e32 v23, v23, v32
	v_add_f32_e32 v28, v33, v12
	v_fma_f32 v32, -0.5, v34, v5
	v_sub_f32_e32 v18, v26, v18
	v_fmac_f32_e32 v17, 0x3e9e377a, v29
	v_fmac_f32_e32 v30, 0x3f167918, v31
	v_add_f32_e32 v29, v6, v15
	v_fmac_f32_e32 v22, 0x3e9e377a, v23
	v_add_f32_e32 v26, v28, v14
	v_fmamk_f32 v28, v18, 0x3f737871, v32
	v_sub_f32_e32 v9, v9, v25
	v_sub_f32_e32 v25, v6, v12
	;; [unrolled: 1-line block ×3, first 2 shown]
	v_fmac_f32_e32 v30, 0x3e9e377a, v23
	v_fma_f32 v23, -0.5, v29, v5
	v_fmac_f32_e32 v32, 0xbf737871, v18
	v_sub_f32_e32 v6, v12, v6
	v_sub_f32_e32 v12, v14, v15
	v_add_f32_e32 v14, v24, v8
	v_fmac_f32_e32 v28, 0x3f167918, v9
	v_add_f32_e32 v5, v25, v31
	v_fmamk_f32 v25, v9, 0xbf737871, v23
	v_fmac_f32_e32 v32, 0xbf167918, v9
	v_add_f32_e32 v6, v6, v12
	v_fmac_f32_e32 v23, 0x3f737871, v9
	v_add_f32_e32 v9, v14, v11
	v_add_f32_e32 v12, v11, v27
	v_fmac_f32_e32 v28, 0x3e9e377a, v5
	v_fmac_f32_e32 v25, 0x3f167918, v18
	;; [unrolled: 1-line block ×4, first 2 shown]
	v_add_f32_e32 v5, v9, v27
	v_fma_f32 v9, -0.5, v12, v24
	v_add_f32_e32 v12, v8, v21
	v_sub_f32_e32 v14, v10, v4
	v_add_f32_e32 v26, v26, v15
	v_fmac_f32_e32 v25, 0x3e9e377a, v6
	v_fmac_f32_e32 v23, 0x3e9e377a, v6
	v_add_f32_e32 v15, v5, v21
	v_sub_f32_e32 v5, v13, v16
	v_fmac_f32_e32 v24, -0.5, v12
	v_fmamk_f32 v18, v14, 0xbf737871, v9
	v_sub_f32_e32 v6, v8, v11
	v_sub_f32_e32 v12, v21, v27
	v_fmac_f32_e32 v9, 0x3f737871, v14
	v_fmamk_f32 v29, v5, 0x3f737871, v24
	v_fmac_f32_e32 v18, 0xbf167918, v5
	v_sub_f32_e32 v31, v11, v8
	v_add_f32_e32 v6, v6, v12
	v_fmac_f32_e32 v9, 0x3f167918, v5
	v_sub_f32_e32 v33, v27, v21
	v_fmac_f32_e32 v24, 0xbf737871, v5
	v_add_f32_e32 v5, v13, v16
	v_fmac_f32_e32 v18, 0x3e9e377a, v6
	v_fmac_f32_e32 v9, 0x3e9e377a, v6
	v_add_f32_e32 v6, v10, v4
	v_fmac_f32_e32 v29, 0xbf167918, v14
	v_add_f32_e32 v12, v31, v33
	v_fmac_f32_e32 v24, 0x3f167918, v14
	v_fma_f32 v5, -0.5, v5, v7
	v_sub_f32_e32 v8, v8, v21
	v_add_f32_e32 v14, v7, v10
	v_sub_f32_e32 v11, v11, v27
	v_fmac_f32_e32 v7, -0.5, v6
	v_fmac_f32_e32 v29, 0x3e9e377a, v12
	v_fmac_f32_e32 v24, 0x3e9e377a, v12
	v_fmamk_f32 v12, v8, 0x3f737871, v5
	v_sub_f32_e32 v6, v10, v13
	v_sub_f32_e32 v21, v4, v16
	v_fmamk_f32 v27, v11, 0xbf737871, v7
	v_sub_f32_e32 v10, v13, v10
	v_sub_f32_e32 v31, v16, v4
	v_fmac_f32_e32 v7, 0x3f737871, v11
	v_fmac_f32_e32 v5, 0xbf737871, v8
	;; [unrolled: 1-line block ×3, first 2 shown]
	v_add_f32_e32 v6, v6, v21
	v_fmac_f32_e32 v27, 0x3f167918, v8
	v_add_f32_e32 v10, v10, v31
	v_fmac_f32_e32 v7, 0xbf167918, v8
	v_fmac_f32_e32 v5, 0xbf167918, v11
	v_add_f32_e32 v8, v14, v13
	v_fmac_f32_e32 v12, 0x3e9e377a, v6
	v_fmac_f32_e32 v27, 0x3e9e377a, v10
	v_fmac_f32_e32 v7, 0x3e9e377a, v10
	v_fmac_f32_e32 v5, 0x3e9e377a, v6
	v_add_f32_e32 v8, v8, v16
	v_mul_f32_e32 v16, 0xbf167918, v12
	v_mul_f32_e32 v35, 0x3f4f1bbd, v12
	;; [unrolled: 1-line block ×8, first 2 shown]
	v_add_f32_e32 v33, v8, v4
	v_fmac_f32_e32 v16, 0x3f4f1bbd, v18
	v_fmac_f32_e32 v35, 0x3f167918, v18
	;; [unrolled: 1-line block ×8, first 2 shown]
	v_add_f32_e32 v4, v19, v15
	v_add_f32_e32 v6, v20, v16
	;; [unrolled: 1-line block ×10, first 2 shown]
	v_sub_f32_e32 v14, v19, v15
	v_sub_f32_e32 v15, v26, v33
	;; [unrolled: 1-line block ×10, first 2 shown]
	ds_write2_b64 v85, v[4:5], v[6:7] offset1:170
	ds_write2_b64 v2, v[8:9], v[10:11] offset0:84 offset1:254
	ds_write2_b64 v1, v[12:13], v[14:15] offset0:40 offset1:210
	ds_write2_b64 v3, v[16:17], v[18:19] offset0:60 offset1:230
	ds_write2_b64 v0, v[20:21], v[22:23] offset0:80 offset1:250
	s_waitcnt lgkmcnt(0)
	s_barrier
	buffer_gl0_inv
	s_and_b32 exec_lo, exec_lo, vcc_lo
	s_cbranch_execz .LBB0_15
; %bb.14:
	global_load_dwordx2 v[3:4], v85, s[12:13]
	ds_read_b64 v[5:6], v85
	s_mov_b32 s0, 0xace01346
	s_mov_b32 s1, 0x3f434679
	v_mad_u64_u32 v[9:10], null, s4, v86, 0
	s_mul_i32 s2, s5, 0x320
	s_mul_i32 s3, s4, 0x320
	s_waitcnt vmcnt(0) lgkmcnt(0)
	v_mul_f32_e32 v7, v6, v4
	v_mul_f32_e32 v4, v5, v4
	v_fmac_f32_e32 v7, v5, v3
	v_fma_f32 v5, v3, v6, -v4
	v_cvt_f64_f32_e32 v[3:4], v7
	v_cvt_f64_f32_e32 v[5:6], v5
	v_mad_u64_u32 v[7:8], null, s6, v236, 0
	v_mad_u64_u32 v[11:12], null, s7, v236, v[8:9]
	v_mad_u64_u32 v[12:13], null, s5, v86, v[10:11]
	v_mov_b32_e32 v8, v11
	s_mul_hi_u32 s5, s4, 0x320
	v_mul_f64 v[3:4], v[3:4], s[0:1]
	v_mul_f64 v[5:6], v[5:6], s[0:1]
	s_add_i32 s2, s5, s2
	v_mov_b32_e32 v10, v12
	v_add_co_u32 v12, s4, s12, v85
	v_add_co_ci_u32_e64 v13, null, s13, 0, s4
	v_cvt_f32_f64_e32 v3, v[3:4]
	v_cvt_f32_f64_e32 v4, v[5:6]
	v_lshlrev_b64 v[5:6], 3, v[7:8]
	v_lshlrev_b64 v[7:8], 3, v[9:10]
	v_add_co_u32 v5, vcc_lo, s14, v5
	v_add_co_ci_u32_e32 v6, vcc_lo, s15, v6, vcc_lo
	v_add_co_u32 v7, vcc_lo, v5, v7
	v_add_co_ci_u32_e32 v8, vcc_lo, v6, v8, vcc_lo
	global_store_dwordx2 v[7:8], v[3:4], off
	global_load_dwordx2 v[9:10], v85, s[12:13] offset:800
	ds_read2_b64 v[3:6], v85 offset0:100 offset1:200
	v_add_co_u32 v7, vcc_lo, v7, s3
	v_add_co_ci_u32_e32 v8, vcc_lo, s2, v8, vcc_lo
	s_waitcnt vmcnt(0) lgkmcnt(0)
	v_mul_f32_e32 v11, v4, v10
	v_mul_f32_e32 v10, v3, v10
	v_fmac_f32_e32 v11, v3, v9
	v_fma_f32 v9, v9, v4, -v10
	v_cvt_f64_f32_e32 v[3:4], v11
	v_cvt_f64_f32_e32 v[9:10], v9
	v_mul_f64 v[3:4], v[3:4], s[0:1]
	v_mul_f64 v[9:10], v[9:10], s[0:1]
	v_cvt_f32_f64_e32 v3, v[3:4]
	v_cvt_f32_f64_e32 v4, v[9:10]
	global_store_dwordx2 v[7:8], v[3:4], off
	global_load_dwordx2 v[3:4], v85, s[12:13] offset:1600
	s_waitcnt vmcnt(0)
	v_mul_f32_e32 v9, v6, v4
	v_mul_f32_e32 v4, v5, v4
	v_fmac_f32_e32 v9, v5, v3
	v_fma_f32 v5, v3, v6, -v4
	v_cvt_f64_f32_e32 v[3:4], v9
	v_cvt_f64_f32_e32 v[5:6], v5
	v_mul_f64 v[3:4], v[3:4], s[0:1]
	v_mul_f64 v[5:6], v[5:6], s[0:1]
	v_cvt_f32_f64_e32 v3, v[3:4]
	v_cvt_f32_f64_e32 v4, v[5:6]
	v_add_co_u32 v6, vcc_lo, v7, s3
	v_add_co_ci_u32_e32 v7, vcc_lo, s2, v8, vcc_lo
	v_add_co_u32 v8, vcc_lo, 0x800, v12
	v_add_co_ci_u32_e32 v9, vcc_lo, 0, v13, vcc_lo
	global_store_dwordx2 v[6:7], v[3:4], off
	global_load_dwordx2 v[10:11], v[8:9], off offset:352
	ds_read2_b64 v[2:5], v2 offset0:44 offset1:144
	v_add_co_u32 v6, vcc_lo, v6, s3
	v_add_co_ci_u32_e32 v7, vcc_lo, s2, v7, vcc_lo
	s_waitcnt vmcnt(0) lgkmcnt(0)
	v_mul_f32_e32 v14, v3, v11
	v_mul_f32_e32 v11, v2, v11
	v_fmac_f32_e32 v14, v2, v10
	v_fma_f32 v10, v10, v3, -v11
	v_cvt_f64_f32_e32 v[2:3], v14
	v_cvt_f64_f32_e32 v[10:11], v10
	v_mul_f64 v[2:3], v[2:3], s[0:1]
	v_mul_f64 v[10:11], v[10:11], s[0:1]
	v_cvt_f32_f64_e32 v2, v[2:3]
	v_cvt_f32_f64_e32 v3, v[10:11]
	global_store_dwordx2 v[6:7], v[2:3], off
	global_load_dwordx2 v[2:3], v[8:9], off offset:1152
	v_add_co_u32 v6, vcc_lo, v6, s3
	v_add_co_ci_u32_e32 v7, vcc_lo, s2, v7, vcc_lo
	s_waitcnt vmcnt(0)
	v_mul_f32_e32 v10, v5, v3
	v_mul_f32_e32 v3, v4, v3
	v_fmac_f32_e32 v10, v4, v2
	v_fma_f32 v4, v2, v5, -v3
	v_cvt_f64_f32_e32 v[2:3], v10
	v_cvt_f64_f32_e32 v[4:5], v4
	v_mul_f64 v[2:3], v[2:3], s[0:1]
	v_mul_f64 v[4:5], v[4:5], s[0:1]
	v_cvt_f32_f64_e32 v2, v[2:3]
	v_cvt_f32_f64_e32 v3, v[4:5]
	global_store_dwordx2 v[6:7], v[2:3], off
	global_load_dwordx2 v[8:9], v[8:9], off offset:1952
	v_add_nc_u32_e32 v2, 0xc00, v85
	v_add_co_u32 v6, vcc_lo, v6, s3
	v_add_co_ci_u32_e32 v7, vcc_lo, s2, v7, vcc_lo
	ds_read2_b64 v[2:5], v2 offset0:116 offset1:216
	s_waitcnt vmcnt(0) lgkmcnt(0)
	v_mul_f32_e32 v10, v3, v9
	v_mul_f32_e32 v9, v2, v9
	v_fmac_f32_e32 v10, v2, v8
	v_fma_f32 v8, v8, v3, -v9
	v_cvt_f64_f32_e32 v[2:3], v10
	v_cvt_f64_f32_e32 v[8:9], v8
	v_mul_f64 v[2:3], v[2:3], s[0:1]
	v_mul_f64 v[8:9], v[8:9], s[0:1]
	v_cvt_f32_f64_e32 v2, v[2:3]
	v_cvt_f32_f64_e32 v3, v[8:9]
	v_add_co_u32 v8, vcc_lo, 0x1000, v12
	v_add_co_ci_u32_e32 v9, vcc_lo, 0, v13, vcc_lo
	global_store_dwordx2 v[6:7], v[2:3], off
	global_load_dwordx2 v[2:3], v[8:9], off offset:704
	s_waitcnt vmcnt(0)
	v_mul_f32_e32 v10, v5, v3
	v_mul_f32_e32 v3, v4, v3
	v_fmac_f32_e32 v10, v4, v2
	v_fma_f32 v4, v2, v5, -v3
	v_cvt_f64_f32_e32 v[2:3], v10
	v_cvt_f64_f32_e32 v[4:5], v4
	v_mul_f64 v[2:3], v[2:3], s[0:1]
	v_mul_f64 v[4:5], v[4:5], s[0:1]
	v_cvt_f32_f64_e32 v2, v[2:3]
	v_cvt_f32_f64_e32 v3, v[4:5]
	v_add_co_u32 v5, vcc_lo, v6, s3
	v_add_co_ci_u32_e32 v6, vcc_lo, s2, v7, vcc_lo
	global_store_dwordx2 v[5:6], v[2:3], off
	global_load_dwordx2 v[7:8], v[8:9], off offset:1504
	ds_read2_b64 v[1:4], v1 offset0:60 offset1:160
	v_add_co_u32 v5, vcc_lo, v5, s3
	v_add_co_ci_u32_e32 v6, vcc_lo, s2, v6, vcc_lo
	s_waitcnt vmcnt(0) lgkmcnt(0)
	v_mul_f32_e32 v9, v2, v8
	v_mul_f32_e32 v8, v1, v8
	v_fmac_f32_e32 v9, v1, v7
	v_fma_f32 v7, v7, v2, -v8
	v_cvt_f64_f32_e32 v[1:2], v9
	v_cvt_f64_f32_e32 v[7:8], v7
	v_mul_f64 v[1:2], v[1:2], s[0:1]
	v_mul_f64 v[7:8], v[7:8], s[0:1]
	v_cvt_f32_f64_e32 v1, v[1:2]
	v_cvt_f32_f64_e32 v2, v[7:8]
	v_add_co_u32 v7, vcc_lo, 0x1800, v12
	v_add_co_ci_u32_e32 v8, vcc_lo, 0, v13, vcc_lo
	global_store_dwordx2 v[5:6], v[1:2], off
	global_load_dwordx2 v[1:2], v[7:8], off offset:256
	v_add_co_u32 v5, vcc_lo, v5, s3
	v_add_co_ci_u32_e32 v6, vcc_lo, s2, v6, vcc_lo
	s_waitcnt vmcnt(0)
	v_mul_f32_e32 v9, v4, v2
	v_mul_f32_e32 v2, v3, v2
	v_fmac_f32_e32 v9, v3, v1
	v_fma_f32 v3, v1, v4, -v2
	v_cvt_f64_f32_e32 v[1:2], v9
	v_cvt_f64_f32_e32 v[3:4], v3
	v_mul_f64 v[1:2], v[1:2], s[0:1]
	v_mul_f64 v[3:4], v[3:4], s[0:1]
	v_cvt_f32_f64_e32 v1, v[1:2]
	v_cvt_f32_f64_e32 v2, v[3:4]
	global_store_dwordx2 v[5:6], v[1:2], off
	global_load_dwordx2 v[9:10], v[7:8], off offset:1056
	v_add_nc_u32_e32 v1, 0x1800, v85
	v_add_co_u32 v5, vcc_lo, v5, s3
	v_add_co_ci_u32_e32 v6, vcc_lo, s2, v6, vcc_lo
	ds_read2_b64 v[1:4], v1 offset0:132 offset1:232
	s_waitcnt vmcnt(0) lgkmcnt(0)
	v_mul_f32_e32 v11, v2, v10
	v_mul_f32_e32 v10, v1, v10
	v_fmac_f32_e32 v11, v1, v9
	v_fma_f32 v9, v9, v2, -v10
	v_cvt_f64_f32_e32 v[1:2], v11
	v_cvt_f64_f32_e32 v[9:10], v9
	v_mul_f64 v[1:2], v[1:2], s[0:1]
	v_mul_f64 v[9:10], v[9:10], s[0:1]
	v_cvt_f32_f64_e32 v1, v[1:2]
	v_cvt_f32_f64_e32 v2, v[9:10]
	global_store_dwordx2 v[5:6], v[1:2], off
	global_load_dwordx2 v[1:2], v[7:8], off offset:1856
	v_add_co_u32 v5, vcc_lo, v5, s3
	v_add_co_ci_u32_e32 v6, vcc_lo, s2, v6, vcc_lo
	s_waitcnt vmcnt(0)
	v_mul_f32_e32 v7, v4, v2
	v_mul_f32_e32 v2, v3, v2
	v_fmac_f32_e32 v7, v3, v1
	v_fma_f32 v3, v1, v4, -v2
	v_cvt_f64_f32_e32 v[1:2], v7
	v_cvt_f64_f32_e32 v[3:4], v3
	v_add_co_u32 v7, vcc_lo, 0x2000, v12
	v_add_co_ci_u32_e32 v8, vcc_lo, 0, v13, vcc_lo
	v_mul_f64 v[1:2], v[1:2], s[0:1]
	v_mul_f64 v[3:4], v[3:4], s[0:1]
	v_cvt_f32_f64_e32 v1, v[1:2]
	v_cvt_f32_f64_e32 v2, v[3:4]
	global_store_dwordx2 v[5:6], v[1:2], off
	global_load_dwordx2 v[9:10], v[7:8], off offset:608
	v_add_nc_u32_e32 v1, 0x2000, v85
	v_add_co_u32 v5, vcc_lo, v5, s3
	v_add_co_ci_u32_e32 v6, vcc_lo, s2, v6, vcc_lo
	ds_read2_b64 v[1:4], v1 offset0:76 offset1:176
	s_waitcnt vmcnt(0) lgkmcnt(0)
	v_mul_f32_e32 v11, v2, v10
	v_mul_f32_e32 v10, v1, v10
	v_fmac_f32_e32 v11, v1, v9
	v_fma_f32 v9, v9, v2, -v10
	v_cvt_f64_f32_e32 v[1:2], v11
	v_cvt_f64_f32_e32 v[9:10], v9
	v_mul_f64 v[1:2], v[1:2], s[0:1]
	v_mul_f64 v[9:10], v[9:10], s[0:1]
	v_cvt_f32_f64_e32 v1, v[1:2]
	v_cvt_f32_f64_e32 v2, v[9:10]
	global_store_dwordx2 v[5:6], v[1:2], off
	global_load_dwordx2 v[1:2], v[7:8], off offset:1408
	s_waitcnt vmcnt(0)
	v_mul_f32_e32 v7, v4, v2
	v_mul_f32_e32 v2, v3, v2
	v_fmac_f32_e32 v7, v3, v1
	v_fma_f32 v3, v1, v4, -v2
	v_cvt_f64_f32_e32 v[1:2], v7
	v_cvt_f64_f32_e32 v[3:4], v3
	v_mul_f64 v[1:2], v[1:2], s[0:1]
	v_mul_f64 v[3:4], v[3:4], s[0:1]
	v_cvt_f32_f64_e32 v1, v[1:2]
	v_cvt_f32_f64_e32 v2, v[3:4]
	v_add_co_u32 v4, vcc_lo, v5, s3
	v_add_co_ci_u32_e32 v5, vcc_lo, s2, v6, vcc_lo
	v_add_co_u32 v6, vcc_lo, 0x2800, v12
	v_add_co_ci_u32_e32 v7, vcc_lo, 0, v13, vcc_lo
	global_store_dwordx2 v[4:5], v[1:2], off
	global_load_dwordx2 v[8:9], v[6:7], off offset:160
	ds_read2_b64 v[0:3], v0 offset0:20 offset1:120
	v_add_co_u32 v4, vcc_lo, v4, s3
	v_add_co_ci_u32_e32 v5, vcc_lo, s2, v5, vcc_lo
	s_waitcnt vmcnt(0) lgkmcnt(0)
	v_mul_f32_e32 v10, v1, v9
	v_mul_f32_e32 v9, v0, v9
	v_fmac_f32_e32 v10, v0, v8
	v_fma_f32 v8, v8, v1, -v9
	v_cvt_f64_f32_e32 v[0:1], v10
	v_cvt_f64_f32_e32 v[8:9], v8
	v_mul_f64 v[0:1], v[0:1], s[0:1]
	v_mul_f64 v[8:9], v[8:9], s[0:1]
	v_cvt_f32_f64_e32 v0, v[0:1]
	v_cvt_f32_f64_e32 v1, v[8:9]
	global_store_dwordx2 v[4:5], v[0:1], off
	global_load_dwordx2 v[0:1], v[6:7], off offset:960
	v_add_co_u32 v4, vcc_lo, v4, s3
	v_add_co_ci_u32_e32 v5, vcc_lo, s2, v5, vcc_lo
	s_waitcnt vmcnt(0)
	v_mul_f32_e32 v8, v3, v1
	v_mul_f32_e32 v1, v2, v1
	v_fmac_f32_e32 v8, v2, v0
	v_fma_f32 v2, v0, v3, -v1
	v_cvt_f64_f32_e32 v[0:1], v8
	v_cvt_f64_f32_e32 v[2:3], v2
	v_mul_f64 v[0:1], v[0:1], s[0:1]
	v_mul_f64 v[2:3], v[2:3], s[0:1]
	v_cvt_f32_f64_e32 v0, v[0:1]
	v_cvt_f32_f64_e32 v1, v[2:3]
	global_store_dwordx2 v[4:5], v[0:1], off
	global_load_dwordx2 v[6:7], v[6:7], off offset:1760
	v_add_nc_u32_e32 v0, 0x2c00, v85
	v_add_co_u32 v4, vcc_lo, v4, s3
	v_add_co_ci_u32_e32 v5, vcc_lo, s2, v5, vcc_lo
	ds_read2_b64 v[0:3], v0 offset0:92 offset1:192
	s_waitcnt vmcnt(0) lgkmcnt(0)
	v_mul_f32_e32 v8, v1, v7
	v_mul_f32_e32 v7, v0, v7
	v_fmac_f32_e32 v8, v0, v6
	v_fma_f32 v6, v6, v1, -v7
	v_cvt_f64_f32_e32 v[0:1], v8
	v_cvt_f64_f32_e32 v[6:7], v6
	v_mul_f64 v[0:1], v[0:1], s[0:1]
	v_mul_f64 v[6:7], v[6:7], s[0:1]
	v_cvt_f32_f64_e32 v0, v[0:1]
	v_cvt_f32_f64_e32 v1, v[6:7]
	v_add_co_u32 v6, vcc_lo, 0x3000, v12
	v_add_co_ci_u32_e32 v7, vcc_lo, 0, v13, vcc_lo
	global_store_dwordx2 v[4:5], v[0:1], off
	global_load_dwordx2 v[0:1], v[6:7], off offset:512
	s_waitcnt vmcnt(0)
	v_mul_f32_e32 v6, v3, v1
	v_mul_f32_e32 v1, v2, v1
	v_fmac_f32_e32 v6, v2, v0
	v_fma_f32 v2, v0, v3, -v1
	v_cvt_f64_f32_e32 v[0:1], v6
	v_cvt_f64_f32_e32 v[2:3], v2
	v_mul_f64 v[0:1], v[0:1], s[0:1]
	v_mul_f64 v[2:3], v[2:3], s[0:1]
	v_cvt_f32_f64_e32 v0, v[0:1]
	v_cvt_f32_f64_e32 v1, v[2:3]
	v_add_co_u32 v2, vcc_lo, v4, s3
	v_add_co_ci_u32_e32 v3, vcc_lo, s2, v5, vcc_lo
	global_store_dwordx2 v[2:3], v[0:1], off
.LBB0_15:
	s_endpgm
	.section	.rodata,"a",@progbits
	.p2align	6, 0x0
	.amdhsa_kernel bluestein_single_fwd_len1700_dim1_sp_op_CI_CI
		.amdhsa_group_segment_fixed_size 13600
		.amdhsa_private_segment_fixed_size 0
		.amdhsa_kernarg_size 104
		.amdhsa_user_sgpr_count 6
		.amdhsa_user_sgpr_private_segment_buffer 1
		.amdhsa_user_sgpr_dispatch_ptr 0
		.amdhsa_user_sgpr_queue_ptr 0
		.amdhsa_user_sgpr_kernarg_segment_ptr 1
		.amdhsa_user_sgpr_dispatch_id 0
		.amdhsa_user_sgpr_flat_scratch_init 0
		.amdhsa_user_sgpr_private_segment_size 0
		.amdhsa_wavefront_size32 1
		.amdhsa_uses_dynamic_stack 0
		.amdhsa_system_sgpr_private_segment_wavefront_offset 0
		.amdhsa_system_sgpr_workgroup_id_x 1
		.amdhsa_system_sgpr_workgroup_id_y 0
		.amdhsa_system_sgpr_workgroup_id_z 0
		.amdhsa_system_sgpr_workgroup_info 0
		.amdhsa_system_vgpr_workitem_id 0
		.amdhsa_next_free_vgpr 256
		.amdhsa_next_free_sgpr 16
		.amdhsa_reserve_vcc 1
		.amdhsa_reserve_flat_scratch 0
		.amdhsa_float_round_mode_32 0
		.amdhsa_float_round_mode_16_64 0
		.amdhsa_float_denorm_mode_32 3
		.amdhsa_float_denorm_mode_16_64 3
		.amdhsa_dx10_clamp 1
		.amdhsa_ieee_mode 1
		.amdhsa_fp16_overflow 0
		.amdhsa_workgroup_processor_mode 1
		.amdhsa_memory_ordered 1
		.amdhsa_forward_progress 0
		.amdhsa_shared_vgpr_count 0
		.amdhsa_exception_fp_ieee_invalid_op 0
		.amdhsa_exception_fp_denorm_src 0
		.amdhsa_exception_fp_ieee_div_zero 0
		.amdhsa_exception_fp_ieee_overflow 0
		.amdhsa_exception_fp_ieee_underflow 0
		.amdhsa_exception_fp_ieee_inexact 0
		.amdhsa_exception_int_div_zero 0
	.end_amdhsa_kernel
	.text
.Lfunc_end0:
	.size	bluestein_single_fwd_len1700_dim1_sp_op_CI_CI, .Lfunc_end0-bluestein_single_fwd_len1700_dim1_sp_op_CI_CI
                                        ; -- End function
	.section	.AMDGPU.csdata,"",@progbits
; Kernel info:
; codeLenInByte = 19424
; NumSgprs: 18
; NumVgprs: 256
; ScratchSize: 0
; MemoryBound: 0
; FloatMode: 240
; IeeeMode: 1
; LDSByteSize: 13600 bytes/workgroup (compile time only)
; SGPRBlocks: 2
; VGPRBlocks: 31
; NumSGPRsForWavesPerEU: 18
; NumVGPRsForWavesPerEU: 256
; Occupancy: 4
; WaveLimiterHint : 1
; COMPUTE_PGM_RSRC2:SCRATCH_EN: 0
; COMPUTE_PGM_RSRC2:USER_SGPR: 6
; COMPUTE_PGM_RSRC2:TRAP_HANDLER: 0
; COMPUTE_PGM_RSRC2:TGID_X_EN: 1
; COMPUTE_PGM_RSRC2:TGID_Y_EN: 0
; COMPUTE_PGM_RSRC2:TGID_Z_EN: 0
; COMPUTE_PGM_RSRC2:TIDIG_COMP_CNT: 0
	.text
	.p2alignl 6, 3214868480
	.fill 48, 4, 3214868480
	.type	__hip_cuid_47131e99c35afa36,@object ; @__hip_cuid_47131e99c35afa36
	.section	.bss,"aw",@nobits
	.globl	__hip_cuid_47131e99c35afa36
__hip_cuid_47131e99c35afa36:
	.byte	0                               ; 0x0
	.size	__hip_cuid_47131e99c35afa36, 1

	.ident	"AMD clang version 19.0.0git (https://github.com/RadeonOpenCompute/llvm-project roc-6.4.0 25133 c7fe45cf4b819c5991fe208aaa96edf142730f1d)"
	.section	".note.GNU-stack","",@progbits
	.addrsig
	.addrsig_sym __hip_cuid_47131e99c35afa36
	.amdgpu_metadata
---
amdhsa.kernels:
  - .args:
      - .actual_access:  read_only
        .address_space:  global
        .offset:         0
        .size:           8
        .value_kind:     global_buffer
      - .actual_access:  read_only
        .address_space:  global
        .offset:         8
        .size:           8
        .value_kind:     global_buffer
      - .actual_access:  read_only
        .address_space:  global
        .offset:         16
        .size:           8
        .value_kind:     global_buffer
      - .actual_access:  read_only
        .address_space:  global
        .offset:         24
        .size:           8
        .value_kind:     global_buffer
      - .actual_access:  read_only
        .address_space:  global
        .offset:         32
        .size:           8
        .value_kind:     global_buffer
      - .offset:         40
        .size:           8
        .value_kind:     by_value
      - .address_space:  global
        .offset:         48
        .size:           8
        .value_kind:     global_buffer
      - .address_space:  global
        .offset:         56
        .size:           8
        .value_kind:     global_buffer
      - .address_space:  global
        .offset:         64
        .size:           8
        .value_kind:     global_buffer
      - .address_space:  global
        .offset:         72
        .size:           8
        .value_kind:     global_buffer
      - .offset:         80
        .size:           4
        .value_kind:     by_value
      - .address_space:  global
        .offset:         88
        .size:           8
        .value_kind:     global_buffer
      - .address_space:  global
        .offset:         96
        .size:           8
        .value_kind:     global_buffer
    .group_segment_fixed_size: 13600
    .kernarg_segment_align: 8
    .kernarg_segment_size: 104
    .language:       OpenCL C
    .language_version:
      - 2
      - 0
    .max_flat_workgroup_size: 170
    .name:           bluestein_single_fwd_len1700_dim1_sp_op_CI_CI
    .private_segment_fixed_size: 0
    .sgpr_count:     18
    .sgpr_spill_count: 0
    .symbol:         bluestein_single_fwd_len1700_dim1_sp_op_CI_CI.kd
    .uniform_work_group_size: 1
    .uses_dynamic_stack: false
    .vgpr_count:     256
    .vgpr_spill_count: 0
    .wavefront_size: 32
    .workgroup_processor_mode: 1
amdhsa.target:   amdgcn-amd-amdhsa--gfx1030
amdhsa.version:
  - 1
  - 2
...

	.end_amdgpu_metadata
